;; amdgpu-corpus repo=ROCm/aiter kind=harvested arch=n/a opt=n/a

/root/src/amdgpu-assembly/repos/ROCm__aiter/hsa/gfx950/f4gemm/f4gemm_bf16_per1x32Fp4_BpreShuffle_128x128.co:	file format elf64-amdgpu

Disassembly of section .text:

0000000000002c00 <_ZN5aiter42f4gemm_bf16_per1x32Fp4_BpreShuffle_128x128E>:
	s_and_b32 s1, s1, 0xffff                                   // 000000002C00: 8601FF01 0000FFFF
	s_load_dwordx2 s[4:5], s[0:1], 0x0                         // 000000002C08: C0060100 00000000
	s_load_dwordx2 s[8:9], s[0:1], 0x10                        // 000000002C10: C0060200 00000010
	s_load_dwordx2 s[12:13], s[0:1], 0x20                      // 000000002C18: C0060300 00000020
	s_load_dwordx2 s[16:17], s[0:1], 0x30                      // 000000002C20: C0060400 00000030
	s_load_dword s41, s[0:1], 0x40                             // 000000002C28: C0020A40 00000040
	s_load_dword s42, s[0:1], 0x50                             // 000000002C30: C0020A80 00000050
	s_load_dword s36, s[0:1], 0x80                             // 000000002C38: C0020900 00000080
	s_load_dword s37, s[0:1], 0xa0                             // 000000002C40: C0020940 000000A0
	s_load_dword s38, s[0:1], 0xc0                             // 000000002C48: C0020980 000000C0
	s_load_dword s43, s[0:1], 0xe0                             // 000000002C50: C0020AC0 000000E0
	s_load_dword s44, s[0:1], 0xf0                             // 000000002C58: C0020B00 000000F0
	s_load_dword s45, s[0:1], 0x100                            // 000000002C60: C0020B40 00000100
	s_load_dwordx2 s[20:21], s[0:1], 0x110                     // 000000002C68: C0060500 00000110
	s_load_dwordx2 s[24:25], s[0:1], 0x120                     // 000000002C70: C0060600 00000120
	s_load_dword s39, s[0:1], 0x130                            // 000000002C78: C00209C0 00000130
	s_load_dword s40, s[0:1], 0x150                            // 000000002C80: C0020A00 00000150
	v_lshrrev_b32_e32 v1, 10, v0                               // 000000002C88: 2002008A
	v_lshrrev_b32_e32 v2, 10, v1                               // 000000002C8C: 2004028A
	v_and_b32_e32 v2, 0x3ff, v2                                // 000000002C90: 260404FF 000003FF
	v_and_b32_e32 v1, 0x3ff, v1                                // 000000002C98: 260202FF 000003FF
	v_and_b32_e32 v0, 0x3ff, v0                                // 000000002CA0: 260000FF 000003FF
	v_lshrrev_b32_e32 v3, 6, v0                                // 000000002CA8: 20060086
	v_and_b32_e32 v0, 63, v0                                   // 000000002CAC: 260000BF
	s_mov_b32 s47, s2                                          // 000000002CB0: BEAF0002
	s_mov_b32 s48, s3                                          // 000000002CB4: BEB00003
	v_readfirstlane_b32 s46, v3                                // 000000002CB8: 7E5C0503
	s_waitcnt lgkmcnt(0)                                       // 000000002CBC: BF8CC07F
	s_add_u32 s51, s44, 0x7f                                   // 000000002CC0: 8033FF2C 0000007F
	s_lshr_b32 s50, s51, 7                                     // 000000002CC8: 8F328733
	s_mul_i32 s49, s50, s48                                    // 000000002CCC: 92313032
	s_add_i32 s49, s49, s47                                    // 000000002CD0: 81312F31
	s_add_u32 s51, s43, 0x7f                                   // 000000002CD4: 8033FF2B 0000007F
	s_lshr_b32 s62, s51, 7                                     // 000000002CDC: 8F3E8733
	s_lshl_b32 s62, s62, 5                                     // 000000002CE0: 8E3E853E
	s_mov_b32 s47, 0                                           // 000000002CE4: BEAF0080

0000000000002ce8 <label_003A>:
	s_cmp_lt_i32 s49, s62                                      // 000000002CE8: BF043E31
	s_cbranch_scc1 label_003F                                  // 000000002CEC: BF850003
	s_sub_i32 s49, s49, s62                                    // 000000002CF0: 81B13E31
	s_add_i32 s47, s47, 32                                     // 000000002CF4: 812FA02F
	s_branch label_003A                                        // 000000002CF8: BF82FFFB

0000000000002cfc <label_003F>:
	s_sub_i32 s50, s50, s47                                    // 000000002CFC: 81B22F32
	s_cmp_lt_i32 s50, 32                                       // 000000002D00: BF04A032
	s_cbranch_scc1 label_0045                                  // 000000002D04: BF850003
	s_lshr_b32 s48, s49, 5                                     // 000000002D08: 8F308531
	s_and_b32 s62, s49, 31                                     // 000000002D0C: 863E9F31
	s_branch label_0065                                        // 000000002D10: BF820020

0000000000002d14 <label_0045>:
	v_cvt_f32_u32_e32 v4, s50                                  // 000000002D14: 7E080C32
	s_sub_i32 s48, 0, s50                                      // 000000002D18: 81B03280
	v_rcp_iflag_f32_e32 v4, v4                                 // 000000002D1C: 7E084704
	s_nop 0                                                    // 000000002D20: BF800000
	v_mul_f32_e32 v4, 0x4f7ffffe, v4                           // 000000002D24: 0A0808FF 4F7FFFFE
	v_cvt_u32_f32_e32 v4, v4                                   // 000000002D2C: 7E080F04
	v_mul_lo_u32 v5, s48, v4                                   // 000000002D30: D2850005 00020830
	v_mul_hi_u32 v5, v4, v5                                    // 000000002D38: D2860005 00020B04
	v_add_u32_e32 v4, v4, v5                                   // 000000002D40: 68080B04
	v_mul_hi_u32 v4, s49, v4                                   // 000000002D44: D2860004 00020831
	v_mul_lo_u32 v5, v4, s50                                   // 000000002D4C: D2850005 00006504
	v_sub_u32_e32 v7, s49, v5                                  // 000000002D54: 6A0E0A31
	v_add_u32_e32 v6, 1, v4                                    // 000000002D58: 680C0881
	v_cmp_le_u32_e32 vcc, s50, v7                              // 000000002D5C: 7D960E32
	v_subrev_u32_e32 v5, s50, v7                               // 000000002D60: 6C0A0E32
	s_nop 0                                                    // 000000002D64: BF800000
	v_cndmask_b32_e32 v4, v4, v6, vcc                          // 000000002D68: 00080D04
	v_cndmask_b32_e32 v7, v7, v5, vcc                          // 000000002D6C: 000E0B07
	v_add_u32_e32 v5, 1, v4                                    // 000000002D70: 680A0881
	v_cmp_le_u32_e32 vcc, s50, v7                              // 000000002D74: 7D960E32
	s_nop 1                                                    // 000000002D78: BF800001
	v_cndmask_b32_e32 v7, v4, v5, vcc                          // 000000002D7C: 000E0B04
	s_nop 3                                                    // 000000002D80: BF800003
	v_readfirstlane_b32 s48, v7                                // 000000002D84: 7E600507
	s_nop 3                                                    // 000000002D88: BF800003
	s_mul_i32 s62, s50, s48                                    // 000000002D8C: 923E3032
	s_sub_i32 s62, s49, s62                                    // 000000002D90: 81BE3E31

0000000000002d94 <label_0065>:
	s_add_i32 s47, s62, s47                                    // 000000002D94: 812F2F3E
	s_lshr_b32 s37, s37, 1                                     // 000000002D98: 8F258125
	s_mul_i32 s62, s48, 0x80                                   // 000000002D9C: 923EFF30 00000080
	s_mul_hi_u32 s63, s37, s62                                 // 000000002DA4: 963F3E25
	s_add_u32 s13, s13, s63                                    // 000000002DA8: 800D3F0D
	s_mul_i32 s63, s37, s62                                    // 000000002DAC: 923F3E25
	s_add_u32 s12, s12, s63                                    // 000000002DB0: 800C3F0C
	s_addc_u32 s13, s13, 0                                     // 000000002DB4: 820D800D
	s_sub_i32 s63, s43, s62                                    // 000000002DB8: 81BF3E2B
	s_cmp_lt_u32 s63, 0x80                                     // 000000002DBC: BF0AFF3F 00000080
	s_cselect_b32 s62, s63, 0x80                               // 000000002DC4: 853EFF3F 00000080
	s_mul_i32 s14, s37, s62                                    // 000000002DCC: 920E3E25
	s_mov_b32 s15, 0x20000                                     // 000000002DD0: BE8F00FF 00020000
	v_lshrrev_b32_e32 v4, 3, v0                                // 000000002DD8: 20080083
	v_lshrrev_b32_e32 v5, 2, v4                                // 000000002DDC: 200A0882
	v_lshlrev_b32_e32 v5, 4, v5                                // 000000002DE0: 240A0A84
	v_and_b32_e32 v4, 3, v4                                    // 000000002DE4: 26080883
	v_lshrrev_b32_e32 v6, 1, v4                                // 000000002DE8: 200C0881
	v_lshlrev_b32_e32 v6, 2, v6                                // 000000002DEC: 240C0C82
	v_add_u32_e32 v5, v5, v6                                   // 000000002DF0: 680A0D05
	v_and_b32_e32 v4, 1, v4                                    // 000000002DF4: 26080881
	v_add_u32_e32 v5, v5, v4                                   // 000000002DF8: 680A0905
	v_mul_lo_u32 v144, s37, v5                                 // 000000002DFC: D2850090 00020A25
	v_and_b32_e32 v4, 7, v0                                    // 000000002E04: 26080087
	v_lshlrev_b32_e32 v4, 4, v4                                // 000000002E08: 24080884
	v_add_u32_e32 v144, v4, v144                               // 000000002E0C: 69212104
	s_lshr_b32 s62, s46, 1                                     // 000000002E10: 8F3E812E
	s_mul_i32 s62, s62, 8                                      // 000000002E14: 923E883E
	s_and_b32 s63, s46, 1                                      // 000000002E18: 863F812E
	s_mul_i32 s63, s63, 2                                      // 000000002E1C: 923F823F
	s_add_u32 s62, s62, s63                                    // 000000002E20: 803E3F3E
	s_mul_i32 s62, s37, s62                                    // 000000002E24: 923E3E25
	v_add_u32_e32 v144, s62, v144                              // 000000002E28: 6921203E
	s_mul_i32 s62, s37, 32                                     // 000000002E2C: 923EA025
	v_add_u32_e32 v145, s62, v144                              // 000000002E30: 6923203E
	v_add_u32_e32 v146, s62, v145                              // 000000002E34: 6925223E
	v_add_u32_e32 v147, s62, v146                              // 000000002E38: 6927243E
	s_mul_i32 s64, 0x420, s46                                  // 000000002E3C: 92402EFF 00000420
	s_add_u32 s64, 0x1000, s64                                 // 000000002E44: 804040FF 00001000
	v_and_b32_e32 v4, 15, v0                                   // 000000002E4C: 2608008F
	v_lshrrev_b32_e32 v5, 3, v4                                // 000000002E50: 200A0883
	v_mul_i32_i24_e32 v5, 2, v5                                // 000000002E54: 0C0A0A82
	v_and_b32_e32 v4, 3, v0                                    // 000000002E58: 26080083
	v_lshrrev_b32_e32 v6, 1, v4                                // 000000002E5C: 200C0881
	v_add_u32_e32 v4, v5, v6                                   // 000000002E60: 68080D05
	v_mul_i32_i24_e32 v148, 0x420, v4                          // 000000002E64: 0D2808FF 00000420
	v_and_b32_e32 v4, 7, v0                                    // 000000002E6C: 26080087
	v_lshrrev_b32_e32 v5, 2, v4                                // 000000002E70: 200A0882
	v_mul_i32_i24_e32 v5, 0x100, v5                            // 000000002E74: 0C0A0AFF 00000100
	v_add_u32_e32 v148, v5, v148                               // 000000002E7C: 69292905
	v_and_b32_e32 v4, 1, v0                                    // 000000002E80: 26080081
	v_mul_i32_i24_e32 v6, 0x80, v4                             // 000000002E84: 0C0C08FF 00000080
	v_add_u32_e32 v148, v6, v148                               // 000000002E8C: 69292906
	v_lshrrev_b32_e32 v4, 4, v0                                // 000000002E90: 20080084
	v_mul_i32_i24_e32 v4, 16, v4                               // 000000002E94: 0C080890
	v_add_u32_e32 v148, v4, v148                               // 000000002E98: 69292904
	v_add_u32_e32 v148, 0x1000, v148                           // 000000002E9C: 692928FF 00001000
	v_add_u32_e32 v149, 0x4200, v148                           // 000000002EA4: 692B28FF 00004200
	v_add_u32_e32 v150, 0x4200, v149                           // 000000002EAC: 692D2AFF 00004200
	v_add_u32_e32 v151, 0x4200, v150                           // 000000002EB4: 692F2CFF 00004200
	s_mul_i32 s62, s48, 0x80                                   // 000000002EBC: 923EFF30 00000080
	s_mul_hi_u32 s63, s39, s62                                 // 000000002EC4: 963F3E27
	s_add_u32 s21, s21, s63                                    // 000000002EC8: 80153F15
	s_mul_i32 s63, s39, s62                                    // 000000002ECC: 923F3E27
	s_add_u32 s20, s20, s63                                    // 000000002ED0: 80143F14
	s_addc_u32 s21, s21, 0                                     // 000000002ED4: 82158015
	s_add_u32 s63, s43, 31                                     // 000000002ED8: 803F9F2B
	s_lshr_b32 s63, s63, 5                                     // 000000002EDC: 8F3F853F
	s_lshl_b32 s63, s63, 5                                     // 000000002EE0: 8E3F853F
	s_sub_i32 s63, s63, s62                                    // 000000002EE4: 81BF3E3F
	s_cmp_lt_u32 s63, 0x80                                     // 000000002EE8: BF0AFF3F 00000080
	s_cselect_b32 s62, s63, 0x80                               // 000000002EF0: 853EFF3F 00000080
	s_mul_i32 s22, s39, s62                                    // 000000002EF8: 92163E27
	s_mov_b32 s23, 0x20000                                     // 000000002EFC: BE9700FF 00020000
	v_lshlrev_b32_e32 v152, 2, v0                              // 000000002F04: 25300082
	s_mul_i32 s63, s46, 32                                     // 000000002F08: 923FA02E
	s_mul_i32 s63, s63, s39                                    // 000000002F0C: 923F273F
	v_add_u32_e32 v152, s63, v152                              // 000000002F10: 6931303F
	s_mul_i32 s65, s46, 0x100                                  // 000000002F14: 9241FF2E 00000100
	s_add_i32 s65, s65, 0                                      // 000000002F1C: 81418041
	v_lshlrev_b32_e32 v153, 2, v0                              // 000000002F20: 25320082
	v_add_u32_e32 v153, 0, v153                                // 000000002F24: 69333280
	s_lshr_b32 s38, s38, 1                                     // 000000002F28: 8F268126
	s_mul_i32 s62, s47, 0x80                                   // 000000002F2C: 923EFF2F 00000080
	s_mul_hi_u32 s63, s38, s62                                 // 000000002F34: 963F3E26
	s_add_u32 s17, s17, s63                                    // 000000002F38: 80113F11
	s_mul_i32 s63, s38, s62                                    // 000000002F3C: 923F3E26
	s_add_u32 s16, s16, s63                                    // 000000002F40: 80103F10
	s_addc_u32 s17, s17, 0                                     // 000000002F44: 82118011
	s_sub_i32 s63, s44, s62                                    // 000000002F48: 81BF3E2C
	s_cmp_lt_u32 s63, 0x80                                     // 000000002F4C: BF0AFF3F 00000080
	s_cselect_b32 s62, s63, 0x80                               // 000000002F54: 853EFF3F 00000080
	s_mul_i32 s18, s38, s62                                    // 000000002F5C: 92123E26
	s_mov_b32 s19, 0x20000                                     // 000000002F60: BE9300FF 00020000
	v_lshlrev_b32_e32 v154, 4, v0                              // 000000002F68: 25340084
	s_mul_i32 s63, s46, 32                                     // 000000002F6C: 923FA02E
	s_mul_i32 s62, s63, s38                                    // 000000002F70: 923E263F
	v_add_u32_e32 v154, s62, v154                              // 000000002F74: 6935343E
	s_mul_i32 s62, 16, s38                                     // 000000002F78: 923E2690
	v_add_u32_e32 v155, s62, v154                              // 000000002F7C: 6937343E
	s_mul_i32 s62, s47, 0x80                                   // 000000002F80: 923EFF2F 00000080
	s_mul_hi_u32 s63, s40, s62                                 // 000000002F88: 963F3E28
	s_add_u32 s25, s25, s63                                    // 000000002F8C: 80193F19
	s_mul_i32 s63, s40, s62                                    // 000000002F90: 923F3E28
	s_add_u32 s24, s24, s63                                    // 000000002F94: 80183F18
	s_addc_u32 s25, s25, 0                                     // 000000002F98: 82198019
	s_sub_i32 s63, s44, s62                                    // 000000002F9C: 81BF3E2C
	s_cmp_lt_u32 s63, 0x80                                     // 000000002FA0: BF0AFF3F 00000080
	s_cselect_b32 s62, s63, 0x80                               // 000000002FA8: 853EFF3F 00000080
	s_mul_i32 s26, s40, s62                                    // 000000002FB0: 921A3E28
	s_mov_b32 s27, 0x20000                                     // 000000002FB4: BE9B00FF 00020000
	v_lshlrev_b32_e32 v156, 2, v0                              // 000000002FBC: 25380082
	s_mul_i32 s63, s46, 32                                     // 000000002FC0: 923FA02E
	s_mul_i32 s63, s63, s40                                    // 000000002FC4: 923F283F
	v_add_u32_e32 v156, s63, v156                              // 000000002FC8: 6939383F
	s_mov_b32 s66, 0x80                                        // 000000002FCC: BEC200FF 00000080
	s_mov_b32 s67, 0x800                                       // 000000002FD4: BEC300FF 00000800
	s_mov_b32 s68, 0x100                                       // 000000002FDC: BEC400FF 00000100
	s_mov_b32 s69, 0x100                                       // 000000002FE4: BEC500FF 00000100
	s_mov_b32 s60, 0                                           // 000000002FEC: BEBC0080
	s_mov_b32 s61, s45                                         // 000000002FF0: BEBD002D
	s_add_u32 m0, 0, s65                                       // 000000002FF4: 807C4180
	buffer_load_dword v152, s[20:23], 0 offen lds              // 000000002FF8: E0511000 80050098
	v_accvgpr_write_b32 a0, 0                                  // 000000003000: D3D94000 18000080
	v_accvgpr_write_b32 a1, 0                                  // 000000003008: D3D94001 18000080
	v_accvgpr_write_b32 a2, 0                                  // 000000003010: D3D94002 18000080
	v_accvgpr_write_b32 a3, 0                                  // 000000003018: D3D94003 18000080
	v_accvgpr_write_b32 a4, 0                                  // 000000003020: D3D94004 18000080
	v_accvgpr_write_b32 a5, 0                                  // 000000003028: D3D94005 18000080
	s_add_u32 m0, 0, s64                                       // 000000003030: 807C4080
	buffer_load_dwordx4 v144, s[12:15], 0 offen lds            // 000000003034: E05D1000 80030090
	v_accvgpr_write_b32 a6, 0                                  // 00000000303C: D3D94006 18000080
	v_accvgpr_write_b32 a7, 0                                  // 000000003044: D3D94007 18000080
	v_accvgpr_write_b32 a8, 0                                  // 00000000304C: D3D94008 18000080
	v_accvgpr_write_b32 a9, 0                                  // 000000003054: D3D94009 18000080
	v_accvgpr_write_b32 a10, 0                                 // 00000000305C: D3D9400A 18000080
	v_accvgpr_write_b32 a11, 0                                 // 000000003064: D3D9400B 18000080
	s_add_u32 m0, 0x1080, s64                                  // 00000000306C: 807C40FF 00001080
	buffer_load_dwordx4 v145, s[12:15], 0 offen lds            // 000000003074: E05D1000 80030091
	v_accvgpr_write_b32 a12, 0                                 // 00000000307C: D3D9400C 18000080
	v_accvgpr_write_b32 a13, 0                                 // 000000003084: D3D9400D 18000080
	v_accvgpr_write_b32 a14, 0                                 // 00000000308C: D3D9400E 18000080
	v_accvgpr_write_b32 a15, 0                                 // 000000003094: D3D9400F 18000080
	v_accvgpr_write_b32 a16, 0                                 // 00000000309C: D3D94010 18000080
	v_accvgpr_write_b32 a17, 0                                 // 0000000030A4: D3D94011 18000080
	s_add_u32 m0, 0x2100, s64                                  // 0000000030AC: 807C40FF 00002100
	buffer_load_dwordx4 v146, s[12:15], 0 offen lds            // 0000000030B4: E05D1000 80030092
	v_accvgpr_write_b32 a18, 0                                 // 0000000030BC: D3D94012 18000080
	v_accvgpr_write_b32 a19, 0                                 // 0000000030C4: D3D94013 18000080
	v_accvgpr_write_b32 a20, 0                                 // 0000000030CC: D3D94014 18000080
	v_accvgpr_write_b32 a21, 0                                 // 0000000030D4: D3D94015 18000080
	v_accvgpr_write_b32 a22, 0                                 // 0000000030DC: D3D94016 18000080
	v_accvgpr_write_b32 a23, 0                                 // 0000000030E4: D3D94017 18000080
	s_add_u32 m0, 0x3180, s64                                  // 0000000030EC: 807C40FF 00003180
	buffer_load_dwordx4 v147, s[12:15], 0 offen lds            // 0000000030F4: E05D1000 80030093
	v_accvgpr_write_b32 a24, 0                                 // 0000000030FC: D3D94018 18000080
	v_accvgpr_write_b32 a25, 0                                 // 000000003104: D3D94019 18000080
	v_accvgpr_write_b32 a26, 0                                 // 00000000310C: D3D9401A 18000080
	v_accvgpr_write_b32 a27, 0                                 // 000000003114: D3D9401B 18000080
	v_accvgpr_write_b32 a28, 0                                 // 00000000311C: D3D9401C 18000080
	v_accvgpr_write_b32 a29, 0                                 // 000000003124: D3D9401D 18000080
	buffer_load_dwordx4 v[72:75], v154, s[16:19], 0 offen      // 00000000312C: E05C1000 8004489A
	v_accvgpr_write_b32 a30, 0                                 // 000000003134: D3D9401E 18000080
	v_accvgpr_write_b32 a31, 0                                 // 00000000313C: D3D9401F 18000080
	v_accvgpr_write_b32 a32, 0                                 // 000000003144: D3D94020 18000080
	v_accvgpr_write_b32 a33, 0                                 // 00000000314C: D3D94021 18000080
	v_accvgpr_write_b32 a34, 0                                 // 000000003154: D3D94022 18000080
	v_accvgpr_write_b32 a35, 0                                 // 00000000315C: D3D94023 18000080
	buffer_load_dwordx4 v[76:79], v155, s[16:19], 0 offen      // 000000003164: E05C1000 80044C9B
	v_accvgpr_write_b32 a36, 0                                 // 00000000316C: D3D94024 18000080
	v_accvgpr_write_b32 a37, 0                                 // 000000003174: D3D94025 18000080
	v_accvgpr_write_b32 a38, 0                                 // 00000000317C: D3D94026 18000080
	v_accvgpr_write_b32 a39, 0                                 // 000000003184: D3D94027 18000080
	v_accvgpr_write_b32 a40, 0                                 // 00000000318C: D3D94028 18000080
	v_accvgpr_write_b32 a41, 0                                 // 000000003194: D3D94029 18000080
	buffer_load_dwordx4 v[80:83], v154, s[16:19], 0 offen offset:1024// 00000000319C: E05C1400 8004509A
	v_accvgpr_write_b32 a42, 0                                 // 0000000031A4: D3D9402A 18000080
	v_accvgpr_write_b32 a43, 0                                 // 0000000031AC: D3D9402B 18000080
	v_accvgpr_write_b32 a44, 0                                 // 0000000031B4: D3D9402C 18000080
	v_accvgpr_write_b32 a45, 0                                 // 0000000031BC: D3D9402D 18000080
	v_accvgpr_write_b32 a46, 0                                 // 0000000031C4: D3D9402E 18000080
	v_accvgpr_write_b32 a47, 0                                 // 0000000031CC: D3D9402F 18000080
	buffer_load_dwordx4 v[84:87], v155, s[16:19], 0 offen offset:1024// 0000000031D4: E05C1400 8004549B
	v_accvgpr_write_b32 a48, 0                                 // 0000000031DC: D3D94030 18000080
	v_accvgpr_write_b32 a49, 0                                 // 0000000031E4: D3D94031 18000080
	v_accvgpr_write_b32 a50, 0                                 // 0000000031EC: D3D94032 18000080
	v_accvgpr_write_b32 a51, 0                                 // 0000000031F4: D3D94033 18000080
	v_accvgpr_write_b32 a52, 0                                 // 0000000031FC: D3D94034 18000080
	v_accvgpr_write_b32 a53, 0                                 // 000000003204: D3D94035 18000080
	buffer_load_dword v140, v156, s[24:27], 0 offen            // 00000000320C: E0501000 80068C9C
	v_accvgpr_write_b32 a54, 0                                 // 000000003214: D3D94036 18000080
	v_accvgpr_write_b32 a55, 0                                 // 00000000321C: D3D94037 18000080
	v_accvgpr_write_b32 a56, 0                                 // 000000003224: D3D94038 18000080
	v_accvgpr_write_b32 a57, 0                                 // 00000000322C: D3D94039 18000080
	v_accvgpr_write_b32 a58, 0                                 // 000000003234: D3D9403A 18000080
	v_accvgpr_write_b32 a59, 0                                 // 00000000323C: D3D9403B 18000080
	s_add_u32 s62, 0x100, s60                                  // 000000003244: 803E3CFF 00000100
	s_cmp_lt_u32 s62, s61                                      // 00000000324C: BF0A3D3E
	s_cselect_b32 s66, s66, 0                                  // 000000003250: 85428042
	s_cselect_b32 s68, s68, 0                                  // 000000003254: 85448044
	s_add_u32 s12, s12, s66                                    // 000000003258: 800C420C
	s_addc_u32 s13, 0, s13                                     // 00000000325C: 820D0D80
	s_sub_u32 s14, s14, s66                                    // 000000003260: 808E420E
	s_add_u32 s20, s20, s68                                    // 000000003264: 80144414
	s_addc_u32 s21, 0, s21                                     // 000000003268: 82151580
	s_sub_u32 s22, s22, s68                                    // 00000000326C: 80964416
	s_add_u32 s63, 0x100, s60                                  // 000000003270: 803F3CFF 00000100
	s_cmp_lt_u32 s63, s61                                      // 000000003278: BF0A3D3F
	s_cselect_b32 s67, s67, 0                                  // 00000000327C: 85438043
	s_cselect_b32 s69, s69, 0                                  // 000000003280: 85458045
	s_add_u32 s16, s16, s67                                    // 000000003284: 80104310
	s_addc_u32 s17, 0, s17                                     // 000000003288: 82111180
	s_sub_u32 s18, s18, s67                                    // 00000000328C: 80924312
	s_add_u32 s24, s24, s69                                    // 000000003290: 80184518
	s_addc_u32 s25, 0, s25                                     // 000000003294: 82191980
	s_sub_u32 s26, s26, s69                                    // 000000003298: 809A451A
	s_add_u32 m0, 0x400, s65                                   // 00000000329C: 807C41FF 00000400
	buffer_load_dword v152, s[20:23], 0 offen lds              // 0000000032A4: E0511000 80050098
	v_accvgpr_write_b32 a60, 0                                 // 0000000032AC: D3D9403C 18000080
	v_accvgpr_write_b32 a61, 0                                 // 0000000032B4: D3D9403D 18000080
	v_accvgpr_write_b32 a62, 0                                 // 0000000032BC: D3D9403E 18000080
	v_accvgpr_write_b32 a63, 0                                 // 0000000032C4: D3D9403F 18000080
	s_add_u32 m0, 0x4200, s64                                  // 0000000032CC: 807C40FF 00004200
	buffer_load_dwordx4 v144, s[12:15], 0 offen lds            // 0000000032D4: E05D1000 80030090
	s_add_u32 m0, 0x5280, s64                                  // 0000000032DC: 807C40FF 00005280
	buffer_load_dwordx4 v145, s[12:15], 0 offen lds            // 0000000032E4: E05D1000 80030091
	s_add_u32 m0, 0x6300, s64                                  // 0000000032EC: 807C40FF 00006300
	buffer_load_dwordx4 v146, s[12:15], 0 offen lds            // 0000000032F4: E05D1000 80030092
	s_add_u32 m0, 0x7380, s64                                  // 0000000032FC: 807C40FF 00007380
	buffer_load_dwordx4 v147, s[12:15], 0 offen lds            // 000000003304: E05D1000 80030093
	buffer_load_dwordx4 v[88:91], v154, s[16:19], 0 offen      // 00000000330C: E05C1000 8004589A
	buffer_load_dwordx4 v[92:95], v155, s[16:19], 0 offen      // 000000003314: E05C1000 80045C9B
	buffer_load_dwordx4 v[96:99], v154, s[16:19], 0 offen offset:1024// 00000000331C: E05C1400 8004609A
	buffer_load_dwordx4 v[100:103], v155, s[16:19], 0 offen offset:1024// 000000003324: E05C1400 8004649B
	buffer_load_dword v141, v156, s[24:27], 0 offen            // 00000000332C: E0501000 80068D9C
	s_add_u32 s62, 0x200, s60                                  // 000000003334: 803E3CFF 00000200
	s_cmp_lt_u32 s62, s61                                      // 00000000333C: BF0A3D3E
	s_cselect_b32 s66, s66, 0                                  // 000000003340: 85428042
	s_cselect_b32 s68, s68, 0                                  // 000000003344: 85448044
	s_add_u32 s12, s12, s66                                    // 000000003348: 800C420C
	s_addc_u32 s13, 0, s13                                     // 00000000334C: 820D0D80
	s_sub_u32 s14, s14, s66                                    // 000000003350: 808E420E
	s_add_u32 s20, s20, s68                                    // 000000003354: 80144414
	s_addc_u32 s21, 0, s21                                     // 000000003358: 82151580
	s_sub_u32 s22, s22, s68                                    // 00000000335C: 80964416
	s_add_u32 s63, 0x200, s60                                  // 000000003360: 803F3CFF 00000200
	s_cmp_lt_u32 s63, s61                                      // 000000003368: BF0A3D3F
	s_cselect_b32 s67, s67, 0                                  // 00000000336C: 85438043
	s_cselect_b32 s69, s69, 0                                  // 000000003370: 85458045
	s_add_u32 s16, s16, s67                                    // 000000003374: 80104310
	s_addc_u32 s17, 0, s17                                     // 000000003378: 82111180
	s_sub_u32 s18, s18, s67                                    // 00000000337C: 80924312
	s_add_u32 s24, s24, s69                                    // 000000003380: 80184518
	s_addc_u32 s25, 0, s25                                     // 000000003384: 82191980
	s_sub_u32 s26, s26, s69                                    // 000000003388: 809A451A
	s_add_u32 m0, 0x800, s65                                   // 00000000338C: 807C41FF 00000800
	buffer_load_dword v152, s[20:23], 0 offen lds              // 000000003394: E0511000 80050098
	s_add_u32 m0, 0x8400, s64                                  // 00000000339C: 807C40FF 00008400
	buffer_load_dwordx4 v144, s[12:15], 0 offen lds            // 0000000033A4: E05D1000 80030090
	s_add_u32 m0, 0x9480, s64                                  // 0000000033AC: 807C40FF 00009480
	buffer_load_dwordx4 v145, s[12:15], 0 offen lds            // 0000000033B4: E05D1000 80030091
	s_add_u32 m0, 0xa500, s64                                  // 0000000033BC: 807C40FF 0000A500
	buffer_load_dwordx4 v146, s[12:15], 0 offen lds            // 0000000033C4: E05D1000 80030092
	s_add_u32 m0, 0xb580, s64                                  // 0000000033CC: 807C40FF 0000B580
	buffer_load_dwordx4 v147, s[12:15], 0 offen lds            // 0000000033D4: E05D1000 80030093
	buffer_load_dwordx4 v[104:107], v154, s[16:19], 0 offen    // 0000000033DC: E05C1000 8004689A
	buffer_load_dwordx4 v[108:111], v155, s[16:19], 0 offen    // 0000000033E4: E05C1000 80046C9B
	buffer_load_dwordx4 v[112:115], v154, s[16:19], 0 offen offset:1024// 0000000033EC: E05C1400 8004709A
	buffer_load_dwordx4 v[116:119], v155, s[16:19], 0 offen offset:1024// 0000000033F4: E05C1400 8004749B
	buffer_load_dword v142, v156, s[24:27], 0 offen            // 0000000033FC: E0501000 80068E9C
	s_add_u32 s62, 0x300, s60                                  // 000000003404: 803E3CFF 00000300
	s_cmp_lt_u32 s62, s61                                      // 00000000340C: BF0A3D3E
	s_cselect_b32 s66, s66, 0                                  // 000000003410: 85428042
	s_cselect_b32 s68, s68, 0                                  // 000000003414: 85448044
	s_add_u32 s12, s12, s66                                    // 000000003418: 800C420C
	s_addc_u32 s13, 0, s13                                     // 00000000341C: 820D0D80
	s_sub_u32 s14, s14, s66                                    // 000000003420: 808E420E
	s_add_u32 s20, s20, s68                                    // 000000003424: 80144414
	s_addc_u32 s21, 0, s21                                     // 000000003428: 82151580
	s_sub_u32 s22, s22, s68                                    // 00000000342C: 80964416
	s_add_u32 s63, 0x300, s60                                  // 000000003430: 803F3CFF 00000300
	s_cmp_lt_u32 s63, s61                                      // 000000003438: BF0A3D3F
	s_cselect_b32 s67, s67, 0                                  // 00000000343C: 85438043
	s_cselect_b32 s69, s69, 0                                  // 000000003440: 85458045
	s_add_u32 s16, s16, s67                                    // 000000003444: 80104310
	s_addc_u32 s17, 0, s17                                     // 000000003448: 82111180
	s_sub_u32 s18, s18, s67                                    // 00000000344C: 80924312
	s_add_u32 s24, s24, s69                                    // 000000003450: 80184518
	s_addc_u32 s25, 0, s25                                     // 000000003454: 82191980
	s_sub_u32 s26, s26, s69                                    // 000000003458: 809A451A
	s_waitcnt vmcnt(27)                                        // 00000000345C: BF8C4F7B
	s_barrier                                                  // 000000003460: BF8A0000
	ds_read_b128 v[8:11], v148                                 // 000000003464: D9FE0000 08000094
	ds_read_b128 v[16:19], v148 offset:64                      // 00000000346C: D9FE0040 10000094
	ds_read_b128 v[12:15], v148 offset:512                     // 000000003474: D9FE0200 0C000094
	ds_read_b128 v[20:23], v148 offset:576                     // 00000000347C: D9FE0240 14000094
	ds_read_b32 v136, v153                                     // 000000003484: D86C0000 88000099
	ds_read_b128 v[24:27], v148 offset:4224                    // 00000000348C: D9FE1080 18000094
	ds_read_b128 v[32:35], v148 offset:4288                    // 000000003494: D9FE10C0 20000094
	ds_read_b128 v[28:31], v148 offset:4736                    // 00000000349C: D9FE1280 1C000094
	ds_read_b128 v[36:39], v148 offset:4800                    // 0000000034A4: D9FE12C0 24000094
	ds_read_b32 v137, v153 offset:256                          // 0000000034AC: D86C0100 89000099
	s_nop 0                                                    // 0000000034B4: BF800000
	s_nop 0                                                    // 0000000034B8: BF800000
	s_nop 0                                                    // 0000000034BC: BF800000
	s_nop 0                                                    // 0000000034C0: BF800000
	s_nop 0                                                    // 0000000034C4: BF800000
	s_lshl_b32 s36, s36, 1                                     // 0000000034C8: 8E248124
	s_mul_i32 s62, s48, 0x80                                   // 0000000034CC: 923EFF30 00000080
	s_mul_hi_u32 s63, s36, s62                                 // 0000000034D4: 963F3E24
	s_add_u32 s5, s5, s63                                      // 0000000034D8: 80053F05
	s_mul_i32 s63, s36, s62                                    // 0000000034DC: 923F3E24
	s_add_u32 s4, s4, s63                                      // 0000000034E0: 80043F04
	s_addc_u32 s5, s5, 0                                       // 0000000034E4: 82058005
	s_mul_i32 s63, s47, 0x80                                   // 0000000034E8: 923FFF2F 00000080
	s_lshl_b32 s63, s63, 1                                     // 0000000034F0: 8E3F813F
	s_add_u32 s4, s4, s63                                      // 0000000034F4: 80043F04
	s_addc_u32 s5, s5, 0                                       // 0000000034F8: 82058005
	s_sub_i32 s62, s43, s62                                    // 0000000034FC: 81BE3E2B
	s_cmp_lt_u32 s62, 0x80                                     // 000000003500: BF0AFF3E 00000080
	s_cselect_b32 s62, s62, 0x80                               // 000000003508: 853EFF3E 00000080
	s_mul_i32 s62, s36, s62                                    // 000000003510: 923E3E24
	s_sub_i32 s6, s62, s63                                     // 000000003514: 81863F3E
	s_mov_b32 s7, 0x20000                                      // 000000003518: BE8700FF 00020000
	s_mul_i32 s62, s46, 32                                     // 000000003520: 923EA02E
	s_lshl_b32 s62, s62, 1                                     // 000000003524: 8E3E813E
	v_lshrrev_b32_e32 v4, 5, v0                                // 000000003528: 20080085
	v_mul_i32_i24_e32 v4, 16, v4                               // 00000000352C: 0C080890
	v_lshrrev_b32_e32 v5, 4, v0                                // 000000003530: 200A0084
	v_and_b32_e32 v5, 1, v5                                    // 000000003534: 260A0A81
	v_mul_i32_i24_e32 v5, 32, v5                               // 000000003538: 0C0A0AA0
	v_add_u32_e32 v4, v4, v5                                   // 00000000353C: 68080B04
	v_and_b32_e32 v5, 15, v0                                   // 000000003540: 260A008F
	v_mul_lo_u32 v157, s36, v5                                 // 000000003544: D285009D 00020A24
	v_add_u32_e32 v157, s62, v157                              // 00000000354C: 693B3A3E
	v_add_u32_e32 v157, v4, v157                               // 000000003550: 693B3B04
	s_cmp_lt_i32 s46, 2                                        // 000000003554: BF04822E
	s_cbranch_scc0 label_05EA                                  // 000000003558: BF840393

000000000000355c <label_0257>:
	s_waitcnt vmcnt(20) lgkmcnt(5)                             // 00000000355C: BF8C4574
	s_barrier                                                  // 000000003560: BF8A0000
	v_mfma_scale_f32_16x16x128_f8f6f4 a[0:3], v[72:75], v[8:11], a[0:3], v140, v136 op_sel_hi:[0,0,0] cbsz:4 blgp:4// 000000003564: D3AC6000 0003118C D3AD8C00 84021148
	ds_read_b128 v[40:43], v148 offset:8448                    // 000000003574: D9FE2100 28000094
	v_mfma_scale_f32_16x16x128_f8f6f4 a[4:7], v[72:75], v[12:15], a[4:7], v140, v136 op_sel_hi:[0,0,0] cbsz:4 blgp:4// 00000000357C: D3AC7000 0003118C D3AD8C04 84121948
	s_add_u32 m0, 0xc00, s65                                   // 00000000358C: 807C41FF 00000C00
	buffer_load_dword v152, s[20:23], 0 offen lds              // 000000003594: E0511000 80050098
	v_mfma_scale_f32_16x16x128_f8f6f4 a[8:11], v[76:79], v[8:11], a[8:11], v140, v136 op_sel_hi:[0,0,0] cbsz:4 blgp:4// 00000000359C: D3AC4800 0003118C D3AD8C08 8422114C
	ds_read_b128 v[48:51], v148 offset:8512                    // 0000000035AC: D9FE2140 30000094
	v_mfma_scale_f32_16x16x128_f8f6f4 a[12:15], v[76:79], v[12:15], a[12:15], v140, v136 op_sel_hi:[0,0,0] cbsz:4 blgp:4// 0000000035B4: D3AC7800 0003118C D3AD8C0C 8432194C
	s_add_u32 m0, 0xc600, s64                                  // 0000000035C4: 807C40FF 0000C600
	buffer_load_dwordx4 v144, s[12:15], 0 offen lds            // 0000000035CC: E05D1000 80030090
	v_mfma_scale_f32_16x16x128_f8f6f4 a[0:3], v[80:83], v[16:19], a[0:3], v140, v136 op_sel_hi:[0,0,0] cbsz:4 blgp:4// 0000000035D4: D3AC6000 1803118C D3AD8C00 84022150
	ds_read_b128 v[44:47], v148 offset:8960                    // 0000000035E4: D9FE2300 2C000094
	v_mfma_scale_f32_16x16x128_f8f6f4 a[4:7], v[80:83], v[20:23], a[4:7], v140, v136 op_sel_hi:[0,0,0] cbsz:4 blgp:4// 0000000035EC: D3AC7000 1803118C D3AD8C04 84122950
	s_add_u32 m0, 0xd680, s64                                  // 0000000035FC: 807C40FF 0000D680
	buffer_load_dwordx4 v145, s[12:15], 0 offen lds            // 000000003604: E05D1000 80030091
	v_mfma_scale_f32_16x16x128_f8f6f4 a[8:11], v[84:87], v[16:19], a[8:11], v140, v136 op_sel_hi:[0,0,0] cbsz:4 blgp:4// 00000000360C: D3AC6800 1803118C D3AD8C08 84222154
	ds_read_b128 v[52:55], v148 offset:9024                    // 00000000361C: D9FE2340 34000094
	v_mfma_scale_f32_16x16x128_f8f6f4 a[12:15], v[84:87], v[20:23], a[12:15], v140, v136 op_sel_hi:[0,0,0] cbsz:4 blgp:4// 000000003624: D3AC7800 1803118C D3AD8C0C 84322954
	s_add_u32 m0, 0xe700, s64                                  // 000000003634: 807C40FF 0000E700
	buffer_load_dwordx4 v146, s[12:15], 0 offen lds            // 00000000363C: E05D1000 80030092
	ds_read_b32 v138, v153 offset:512                          // 000000003644: D86C0200 8A000099
	s_waitcnt lgkmcnt(5)                                       // 00000000364C: BF8CC57F
	v_mfma_scale_f32_16x16x128_f8f6f4 a[16:19], v[72:75], v[24:27], a[16:19], v140, v137 op_sel_hi:[0,0,0] cbsz:4 blgp:4// 000000003650: D3AC6000 0003138C D3AD8C10 84423148
	ds_read_b128 v[56:59], v148 offset:12672                   // 000000003660: D9FE3180 38000094
	v_mfma_scale_f32_16x16x128_f8f6f4 a[20:23], v[72:75], v[28:31], a[20:23], v140, v137 op_sel_hi:[0,0,0] cbsz:4 blgp:4// 000000003668: D3AC7000 0003138C D3AD8C14 84523948
	s_add_u32 m0, 0xf780, s64                                  // 000000003678: 807C40FF 0000F780
	buffer_load_dwordx4 v147, s[12:15], 0 offen lds            // 000000003680: E05D1000 80030093
	v_mfma_scale_f32_16x16x128_f8f6f4 a[24:27], v[76:79], v[24:27], a[24:27], v140, v137 op_sel_hi:[0,0,0] cbsz:4 blgp:4// 000000003688: D3AC6800 0003138C D3AD8C18 8462314C
	s_add_u32 s62, 0x400, s60                                  // 000000003698: 803E3CFF 00000400
	ds_read_b128 v[64:67], v148 offset:12736                   // 0000000036A0: D9FE31C0 40000094
	v_mfma_scale_f32_16x16x128_f8f6f4 a[28:31], v[76:79], v[28:31], a[28:31], v140, v137 op_sel_hi:[0,0,0] cbsz:4 blgp:4// 0000000036A8: D3AC7800 0003138C D3AD8C1C 8472394C
	s_cmp_lt_u32 s62, s61                                      // 0000000036B8: BF0A3D3E
	s_cselect_b32 s66, s66, 0                                  // 0000000036BC: 85428042
	v_mfma_scale_f32_16x16x128_f8f6f4 a[16:19], v[80:83], v[32:35], a[16:19], v140, v137 op_sel_hi:[0,0,0] cbsz:4 blgp:4// 0000000036C0: D3AC6000 1803138C D3AD8C10 84424150
	s_cselect_b32 s68, s68, 0                                  // 0000000036D0: 85448044
	ds_read_b128 v[60:63], v148 offset:13184                   // 0000000036D4: D9FE3380 3C000094
	v_mfma_scale_f32_16x16x128_f8f6f4 a[20:23], v[80:83], v[36:39], a[20:23], v140, v137 op_sel_hi:[0,0,0] cbsz:4 blgp:4// 0000000036DC: D3AC7000 1803138C D3AD8C14 84524950
	s_add_u32 s12, s12, s66                                    // 0000000036EC: 800C420C
	buffer_load_dwordx4 v[120:123], v154, s[16:19], 0 offen    // 0000000036F0: E05C1000 8004789A
	v_mfma_scale_f32_16x16x128_f8f6f4 a[24:27], v[84:87], v[32:35], a[24:27], v140, v137 op_sel_hi:[0,0,0] cbsz:4 blgp:4// 0000000036F8: D3AC6800 1803138C D3AD8C18 84624154
	s_addc_u32 s13, 0, s13                                     // 000000003708: 820D0D80
	ds_read_b128 v[68:71], v148 offset:13248                   // 00000000370C: D9FE33C0 44000094
	v_mfma_scale_f32_16x16x128_f8f6f4 a[28:31], v[84:87], v[36:39], a[28:31], v140, v137 op_sel_hi:[0,0,0] cbsz:4 blgp:4// 000000003714: D3AC7800 1803138C D3AD8C1C 84724954
	s_sub_u32 s14, s14, s66                                    // 000000003724: 808E420E
	s_add_u32 s20, s20, s68                                    // 000000003728: 80144414
	ds_read_b32 v139, v153 offset:768                          // 00000000372C: D86C0300 8B000099
	s_waitcnt vmcnt(23) lgkmcnt(5)                             // 000000003734: BF8C4577
	s_barrier                                                  // 000000003738: BF8A0000
	v_mfma_scale_f32_16x16x128_f8f6f4 a[32:35], v[72:75], v[40:43], a[32:35], v140, v138 op_sel_hi:[0,0,0] cbsz:4 blgp:4// 00000000373C: D3AC6000 0003158C D3AD8C20 84825148
	s_addc_u32 s21, 0, s21                                     // 00000000374C: 82151580
	ds_read_b128 v[8:11], v149                                 // 000000003750: D9FE0000 08000095
	v_mfma_scale_f32_16x16x128_f8f6f4 a[36:39], v[72:75], v[44:47], a[36:39], v140, v138 op_sel_hi:[0,0,0] cbsz:4 blgp:4// 000000003758: D3AC7000 0003158C D3AD8C24 84925948
	s_sub_u32 s22, s22, s68                                    // 000000003768: 80964416
	buffer_load_dwordx4 v[124:127], v155, s[16:19], 0 offen    // 00000000376C: E05C1000 80047C9B
	v_mfma_scale_f32_16x16x128_f8f6f4 a[40:43], v[76:79], v[40:43], a[40:43], v140, v138 op_sel_hi:[0,0,0] cbsz:4 blgp:4// 000000003774: D3AC6800 0003158C D3AD8C28 84A2514C
	s_add_u32 s63, 0x400, s60                                  // 000000003784: 803F3CFF 00000400
	ds_read_b128 v[16:19], v149 offset:64                      // 00000000378C: D9FE0040 10000095
	v_mfma_scale_f32_16x16x128_f8f6f4 a[44:47], v[76:79], v[44:47], a[44:47], v140, v138 op_sel_hi:[0,0,0] cbsz:4 blgp:4// 000000003794: D3AC7800 0003158C D3AD8C2C 84B2594C
	s_cmp_lt_u32 s63, s61                                      // 0000000037A4: BF0A3D3F
	s_cselect_b32 s67, s67, 0                                  // 0000000037A8: 85438043
	v_mfma_scale_f32_16x16x128_f8f6f4 a[32:35], v[80:83], v[48:51], a[32:35], v140, v138 op_sel_hi:[0,0,0] cbsz:4 blgp:4// 0000000037AC: D3AC6000 1803158C D3AD8C20 84826150
	s_cselect_b32 s69, s69, 0                                  // 0000000037BC: 85458045
	ds_read_b128 v[12:15], v149 offset:512                     // 0000000037C0: D9FE0200 0C000095
	v_mfma_scale_f32_16x16x128_f8f6f4 a[36:39], v[80:83], v[52:55], a[36:39], v140, v138 op_sel_hi:[0,0,0] cbsz:4 blgp:4// 0000000037C8: D3AC7000 1803158C D3AD8C24 84926950
	buffer_load_dwordx4 v[128:131], v154, s[16:19], 0 offen offset:1024// 0000000037D8: E05C1400 8004809A
	v_mfma_scale_f32_16x16x128_f8f6f4 a[40:43], v[84:87], v[48:51], a[40:43], v140, v138 op_sel_hi:[0,0,0] cbsz:4 blgp:4// 0000000037E0: D3AC6800 1803158C D3AD8C28 84A26154
	ds_read_b128 v[20:23], v149 offset:576                     // 0000000037F0: D9FE0240 14000095
	v_mfma_scale_f32_16x16x128_f8f6f4 a[44:47], v[84:87], v[52:55], a[44:47], v140, v138 op_sel_hi:[0,0,0] cbsz:4 blgp:4// 0000000037F8: D3AC7800 1803158C D3AD8C2C 84B26954
	ds_read_b32 v136, v153 offset:1024                         // 000000003808: D86C0400 88000099
	s_waitcnt lgkmcnt(5)                                       // 000000003810: BF8CC57F
	v_mfma_scale_f32_16x16x128_f8f6f4 a[48:51], v[72:75], v[56:59], a[48:51], v140, v139 op_sel_hi:[0,0,0] cbsz:4 blgp:4// 000000003814: D3AC6000 0003178C D3AD8C30 84C27148
	ds_read_b128 v[24:27], v149 offset:4224                    // 000000003824: D9FE1080 18000095
	v_mfma_scale_f32_16x16x128_f8f6f4 a[52:55], v[72:75], v[60:63], a[52:55], v140, v139 op_sel_hi:[0,0,0] cbsz:4 blgp:4// 00000000382C: D3AC7000 0003178C D3AD8C34 84D27948
	buffer_load_dwordx4 v[132:135], v155, s[16:19], 0 offen offset:1024// 00000000383C: E05C1400 8004849B
	v_mfma_scale_f32_16x16x128_f8f6f4 a[56:59], v[76:79], v[56:59], a[56:59], v140, v139 op_sel_hi:[0,0,0] cbsz:4 blgp:4// 000000003844: D3AC6800 0003178C D3AD8C38 84E2714C
	ds_read_b128 v[32:35], v149 offset:4288                    // 000000003854: D9FE10C0 20000095
	v_mfma_scale_f32_16x16x128_f8f6f4 a[60:63], v[76:79], v[60:63], a[60:63], v140, v139 op_sel_hi:[0,0,0] cbsz:4 blgp:4// 00000000385C: D3AC7800 0003178C D3AD8C3C 84F2794C
	v_mfma_scale_f32_16x16x128_f8f6f4 a[48:51], v[80:83], v[64:67], a[48:51], v140, v139 op_sel_hi:[0,0,0] cbsz:4 blgp:4// 00000000386C: D3AC6000 1803178C D3AD8C30 84C28150
	ds_read_b128 v[28:31], v149 offset:4736                    // 00000000387C: D9FE1280 1C000095
	v_mfma_scale_f32_16x16x128_f8f6f4 a[52:55], v[80:83], v[68:71], a[52:55], v140, v139 op_sel_hi:[0,0,0] cbsz:4 blgp:4// 000000003884: D3AC7000 1803178C D3AD8C34 84D28950
	buffer_load_dword v143, v156, s[24:27], 0 offen            // 000000003894: E0501000 80068F9C
	v_mfma_scale_f32_16x16x128_f8f6f4 a[56:59], v[84:87], v[64:67], a[56:59], v140, v139 op_sel_hi:[0,0,0] cbsz:4 blgp:4// 00000000389C: D3AC6800 1803178C D3AD8C38 84E28154
	s_add_u32 s16, s16, s67                                    // 0000000038AC: 80104310
	ds_read_b128 v[36:39], v149 offset:4800                    // 0000000038B0: D9FE12C0 24000095
	v_mfma_scale_f32_16x16x128_f8f6f4 a[60:63], v[84:87], v[68:71], a[60:63], v140, v139 op_sel_hi:[0,0,0] cbsz:4 blgp:4// 0000000038B8: D3AC7800 1803178C D3AD8C3C 84F28954
	s_addc_u32 s17, 0, s17                                     // 0000000038C8: 82111180
	s_sub_u32 s18, s18, s67                                    // 0000000038CC: 80924312
	ds_read_b32 v137, v153 offset:1280                         // 0000000038D0: D86C0500 89000099
	s_add_u32 s24, s24, s69                                    // 0000000038D8: 80184518
	s_addc_u32 s25, 0, s25                                     // 0000000038DC: 82191980
	s_sub_u32 s26, s26, s69                                    // 0000000038E0: 809A451A
	s_addk_i32 s60, 0x100                                      // 0000000038E4: B73C0100
	s_cmp_lt_i32 s60, s61                                      // 0000000038E8: BF043D3C
	s_cbranch_scc0 label_097D                                  // 0000000038EC: BF840641
	s_waitcnt vmcnt(20) lgkmcnt(5)                             // 0000000038F0: BF8C4574
	s_barrier                                                  // 0000000038F4: BF8A0000
	v_mfma_scale_f32_16x16x128_f8f6f4 a[0:3], v[88:91], v[8:11], a[0:3], v141, v136 op_sel_hi:[0,0,0] cbsz:4 blgp:4// 0000000038F8: D3AC6000 0003118D D3AD8C00 84021158
	ds_read_b128 v[40:43], v149 offset:8448                    // 000000003908: D9FE2100 28000095
	v_mfma_scale_f32_16x16x128_f8f6f4 a[4:7], v[88:91], v[12:15], a[4:7], v141, v136 op_sel_hi:[0,0,0] cbsz:4 blgp:4// 000000003910: D3AC7000 0003118D D3AD8C04 84121958
	s_add_u32 m0, 0, s65                                       // 000000003920: 807C4180
	buffer_load_dword v152, s[20:23], 0 offen lds              // 000000003924: E0511000 80050098
	v_mfma_scale_f32_16x16x128_f8f6f4 a[8:11], v[92:95], v[8:11], a[8:11], v141, v136 op_sel_hi:[0,0,0] cbsz:4 blgp:4// 00000000392C: D3AC6800 0003118D D3AD8C08 8422115C
	ds_read_b128 v[48:51], v149 offset:8512                    // 00000000393C: D9FE2140 30000095
	v_mfma_scale_f32_16x16x128_f8f6f4 a[12:15], v[92:95], v[12:15], a[12:15], v141, v136 op_sel_hi:[0,0,0] cbsz:4 blgp:4// 000000003944: D3AC7800 0003118D D3AD8C0C 8432195C
	s_add_u32 m0, 0, s64                                       // 000000003954: 807C4080
	buffer_load_dwordx4 v144, s[12:15], 0 offen lds            // 000000003958: E05D1000 80030090
	v_mfma_scale_f32_16x16x128_f8f6f4 a[0:3], v[96:99], v[16:19], a[0:3], v141, v136 op_sel_hi:[0,0,0] cbsz:4 blgp:4// 000000003960: D3AC6000 1803118D D3AD8C00 84022160
	ds_read_b128 v[44:47], v149 offset:8960                    // 000000003970: D9FE2300 2C000095
	v_mfma_scale_f32_16x16x128_f8f6f4 a[4:7], v[96:99], v[20:23], a[4:7], v141, v136 op_sel_hi:[0,0,0] cbsz:4 blgp:4// 000000003978: D3AC3000 1803118D D3AD8C04 84122960
	s_add_u32 m0, 0x1080, s64                                  // 000000003988: 807C40FF 00001080
	buffer_load_dwordx4 v145, s[12:15], 0 offen lds            // 000000003990: E05D1000 80030091
	v_mfma_scale_f32_16x16x128_f8f6f4 a[8:11], v[100:103], v[16:19], a[8:11], v141, v136 op_sel_hi:[0,0,0] cbsz:4 blgp:4// 000000003998: D3AC6800 1803118D D3AD8C08 84222164
	ds_read_b128 v[52:55], v149 offset:9024                    // 0000000039A8: D9FE2340 34000095
	v_mfma_scale_f32_16x16x128_f8f6f4 a[12:15], v[100:103], v[20:23], a[12:15], v141, v136 op_sel_hi:[0,0,0] cbsz:4 blgp:4// 0000000039B0: D3AC7800 1803118D D3AD8C0C 84322964
	s_add_u32 m0, 0x2100, s64                                  // 0000000039C0: 807C40FF 00002100
	buffer_load_dwordx4 v146, s[12:15], 0 offen lds            // 0000000039C8: E05D1000 80030092
	ds_read_b32 v138, v153 offset:1536                         // 0000000039D0: D86C0600 8A000099
	s_waitcnt lgkmcnt(5)                                       // 0000000039D8: BF8CC57F
	v_mfma_scale_f32_16x16x128_f8f6f4 a[16:19], v[88:91], v[24:27], a[16:19], v141, v137 op_sel_hi:[0,0,0] cbsz:4 blgp:4// 0000000039DC: D3AC6000 0003138D D3AD8C10 84423158
	ds_read_b128 v[56:59], v149 offset:12672                   // 0000000039EC: D9FE3180 38000095
	v_mfma_scale_f32_16x16x128_f8f6f4 a[20:23], v[88:91], v[28:31], a[20:23], v141, v137 op_sel_hi:[0,0,0] cbsz:4 blgp:4// 0000000039F4: D3AC7000 0003138D D3AD8C14 84523958
	s_add_u32 m0, 0x3180, s64                                  // 000000003A04: 807C40FF 00003180
	buffer_load_dwordx4 v147, s[12:15], 0 offen lds            // 000000003A0C: E05D1000 80030093
	v_mfma_scale_f32_16x16x128_f8f6f4 a[24:27], v[92:95], v[24:27], a[24:27], v141, v137 op_sel_hi:[0,0,0] cbsz:4 blgp:4// 000000003A14: D3AC6800 0003138D D3AD8C18 8462315C
	s_add_u32 s62, 0x400, s60                                  // 000000003A24: 803E3CFF 00000400
	ds_read_b128 v[64:67], v149 offset:12736                   // 000000003A2C: D9FE31C0 40000095
	v_mfma_scale_f32_16x16x128_f8f6f4 a[28:31], v[92:95], v[28:31], a[28:31], v141, v137 op_sel_hi:[0,0,0] cbsz:4 blgp:4// 000000003A34: D3AC7800 0003138D D3AD8C1C 8472395C
	s_cmp_lt_u32 s62, s61                                      // 000000003A44: BF0A3D3E
	s_cselect_b32 s66, s66, 0                                  // 000000003A48: 85428042
	v_mfma_scale_f32_16x16x128_f8f6f4 a[16:19], v[96:99], v[32:35], a[16:19], v141, v137 op_sel_hi:[0,0,0] cbsz:4 blgp:4// 000000003A4C: D3AC6000 1803138D D3AD8C10 84424160
	s_cselect_b32 s68, s68, 0                                  // 000000003A5C: 85448044
	ds_read_b128 v[60:63], v149 offset:13184                   // 000000003A60: D9FE3380 3C000095
	v_mfma_scale_f32_16x16x128_f8f6f4 a[20:23], v[96:99], v[36:39], a[20:23], v141, v137 op_sel_hi:[0,0,0] cbsz:4 blgp:4// 000000003A68: D3AC7000 1803138D D3AD8C14 84524960
	s_add_u32 s12, s12, s66                                    // 000000003A78: 800C420C
	buffer_load_dwordx4 v[72:75], v154, s[16:19], 0 offen      // 000000003A7C: E05C1000 8004489A
	v_mfma_scale_f32_16x16x128_f8f6f4 a[24:27], v[100:103], v[32:35], a[24:27], v141, v137 op_sel_hi:[0,0,0] cbsz:4 blgp:4// 000000003A84: D3AC6800 1803138D D3AD8C18 84624164
	s_addc_u32 s13, 0, s13                                     // 000000003A94: 820D0D80
	ds_read_b128 v[68:71], v149 offset:13248                   // 000000003A98: D9FE33C0 44000095
	v_mfma_scale_f32_16x16x128_f8f6f4 a[28:31], v[100:103], v[36:39], a[28:31], v141, v137 op_sel_hi:[0,0,0] cbsz:4 blgp:4// 000000003AA0: D3AC7800 1803138D D3AD8C1C 84724964
	s_sub_u32 s14, s14, s66                                    // 000000003AB0: 808E420E
	s_add_u32 s20, s20, s68                                    // 000000003AB4: 80144414
	ds_read_b32 v139, v153 offset:1792                         // 000000003AB8: D86C0700 8B000099
	s_waitcnt vmcnt(23) lgkmcnt(5)                             // 000000003AC0: BF8C4577
	s_barrier                                                  // 000000003AC4: BF8A0000
	v_mfma_scale_f32_16x16x128_f8f6f4 a[32:35], v[88:91], v[40:43], a[32:35], v141, v138 op_sel_hi:[0,0,0] cbsz:4 blgp:4// 000000003AC8: D3AC6000 0003158D D3AD8C20 84825158
	s_addc_u32 s21, 0, s21                                     // 000000003AD8: 82151580
	ds_read_b128 v[8:11], v150                                 // 000000003ADC: D9FE0000 08000096
	v_mfma_scale_f32_16x16x128_f8f6f4 a[36:39], v[88:91], v[44:47], a[36:39], v141, v138 op_sel_hi:[0,0,0] cbsz:4 blgp:4// 000000003AE4: D3AC7000 0003158D D3AD8C24 84925958
	s_sub_u32 s22, s22, s68                                    // 000000003AF4: 80964416
	buffer_load_dwordx4 v[76:79], v155, s[16:19], 0 offen      // 000000003AF8: E05C1000 80044C9B
	v_mfma_scale_f32_16x16x128_f8f6f4 a[40:43], v[92:95], v[40:43], a[40:43], v141, v138 op_sel_hi:[0,0,0] cbsz:4 blgp:4// 000000003B00: D3AC6800 0003158D D3AD8C28 84A2515C
	s_add_u32 s63, 0x400, s60                                  // 000000003B10: 803F3CFF 00000400
	ds_read_b128 v[16:19], v150 offset:64                      // 000000003B18: D9FE0040 10000096
	v_mfma_scale_f32_16x16x128_f8f6f4 a[44:47], v[92:95], v[44:47], a[44:47], v141, v138 op_sel_hi:[0,0,0] cbsz:4 blgp:4// 000000003B20: D3AC7800 0003158D D3AD8C2C 84B2595C
	s_cmp_lt_u32 s63, s61                                      // 000000003B30: BF0A3D3F
	s_cselect_b32 s67, s67, 0                                  // 000000003B34: 85438043
	v_mfma_scale_f32_16x16x128_f8f6f4 a[32:35], v[96:99], v[48:51], a[32:35], v141, v138 op_sel_hi:[0,0,0] cbsz:4 blgp:4// 000000003B38: D3AC6000 1803158D D3AD8C20 84826160
	s_cselect_b32 s69, s69, 0                                  // 000000003B48: 85458045
	ds_read_b128 v[12:15], v150 offset:512                     // 000000003B4C: D9FE0200 0C000096
	v_mfma_scale_f32_16x16x128_f8f6f4 a[36:39], v[96:99], v[52:55], a[36:39], v141, v138 op_sel_hi:[0,0,0] cbsz:4 blgp:4// 000000003B54: D3AC7000 1803158D D3AD8C24 84926960
	buffer_load_dwordx4 v[80:83], v154, s[16:19], 0 offen offset:1024// 000000003B64: E05C1400 8004509A
	v_mfma_scale_f32_16x16x128_f8f6f4 a[40:43], v[100:103], v[48:51], a[40:43], v141, v138 op_sel_hi:[0,0,0] cbsz:4 blgp:4// 000000003B6C: D3AC6800 1803158D D3AD8C28 84A26164
	ds_read_b128 v[20:23], v150 offset:576                     // 000000003B7C: D9FE0240 14000096
	v_mfma_scale_f32_16x16x128_f8f6f4 a[44:47], v[100:103], v[52:55], a[44:47], v141, v138 op_sel_hi:[0,0,0] cbsz:4 blgp:4// 000000003B84: D3AC7800 1803158D D3AD8C2C 84B26964
	ds_read_b32 v136, v153 offset:2048                         // 000000003B94: D86C0800 88000099
	s_waitcnt lgkmcnt(5)                                       // 000000003B9C: BF8CC57F
	v_mfma_scale_f32_16x16x128_f8f6f4 a[48:51], v[88:91], v[56:59], a[48:51], v141, v139 op_sel_hi:[0,0,0] cbsz:4 blgp:4// 000000003BA0: D3AC6000 0003178D D3AD8C30 84C27158
	ds_read_b128 v[24:27], v150 offset:4224                    // 000000003BB0: D9FE1080 18000096
	v_mfma_scale_f32_16x16x128_f8f6f4 a[52:55], v[88:91], v[60:63], a[52:55], v141, v139 op_sel_hi:[0,0,0] cbsz:4 blgp:4// 000000003BB8: D3AC7000 0003178D D3AD8C34 84D27958
	buffer_load_dwordx4 v[84:87], v155, s[16:19], 0 offen offset:1024// 000000003BC8: E05C1400 8004549B
	v_mfma_scale_f32_16x16x128_f8f6f4 a[56:59], v[92:95], v[56:59], a[56:59], v141, v139 op_sel_hi:[0,0,0] cbsz:4 blgp:4// 000000003BD0: D3AC6800 0003178D D3AD8C38 84E2715C
	ds_read_b128 v[32:35], v150 offset:4288                    // 000000003BE0: D9FE10C0 20000096
	v_mfma_scale_f32_16x16x128_f8f6f4 a[60:63], v[92:95], v[60:63], a[60:63], v141, v139 op_sel_hi:[0,0,0] cbsz:4 blgp:4// 000000003BE8: D3AC7800 0003178D D3AD8C3C 84F2795C
	v_mfma_scale_f32_16x16x128_f8f6f4 a[48:51], v[96:99], v[64:67], a[48:51], v141, v139 op_sel_hi:[0,0,0] cbsz:4 blgp:4// 000000003BF8: D3AC6000 1803178D D3AD8C30 84C28160
	ds_read_b128 v[28:31], v150 offset:4736                    // 000000003C08: D9FE1280 1C000096
	v_mfma_scale_f32_16x16x128_f8f6f4 a[52:55], v[96:99], v[68:71], a[52:55], v141, v139 op_sel_hi:[0,0,0] cbsz:4 blgp:4// 000000003C10: D3AC7000 1803178D D3AD8C34 84D28960
	buffer_load_dword v140, v156, s[24:27], 0 offen            // 000000003C20: E0501000 80068C9C
	v_mfma_scale_f32_16x16x128_f8f6f4 a[56:59], v[100:103], v[64:67], a[56:59], v141, v139 op_sel_hi:[0,0,0] cbsz:4 blgp:4// 000000003C28: D3AC6800 1803178D D3AD8C38 84E28164
	s_add_u32 s16, s16, s67                                    // 000000003C38: 80104310
	ds_read_b128 v[36:39], v150 offset:4800                    // 000000003C3C: D9FE12C0 24000096
	v_mfma_scale_f32_16x16x128_f8f6f4 a[60:63], v[100:103], v[68:71], a[60:63], v141, v139 op_sel_hi:[0,0,0] cbsz:4 blgp:4// 000000003C44: D3AC7800 1803178D D3AD8C3C 84F28964
	s_addc_u32 s17, 0, s17                                     // 000000003C54: 82111180
	s_sub_u32 s18, s18, s67                                    // 000000003C58: 80924312
	ds_read_b32 v137, v153 offset:2304                         // 000000003C5C: D86C0900 89000099
	s_add_u32 s24, s24, s69                                    // 000000003C64: 80184518
	s_addc_u32 s25, 0, s25                                     // 000000003C68: 82191980
	s_sub_u32 s26, s26, s69                                    // 000000003C6C: 809A451A
	s_addk_i32 s60, 0x100                                      // 000000003C70: B73C0100
	s_cmp_lt_i32 s60, s61                                      // 000000003C74: BF043D3C
	s_cbranch_scc0 label_097D                                  // 000000003C78: BF84055E
	s_waitcnt vmcnt(20) lgkmcnt(5)                             // 000000003C7C: BF8C4574
	s_barrier                                                  // 000000003C80: BF8A0000
	v_mfma_scale_f32_16x16x128_f8f6f4 a[0:3], v[104:107], v[8:11], a[0:3], v142, v136 op_sel_hi:[0,0,0] cbsz:4 blgp:4// 000000003C84: D3AC6000 0003118E D3AD8C00 84021168
	ds_read_b128 v[40:43], v150 offset:8448                    // 000000003C94: D9FE2100 28000096
	v_mfma_scale_f32_16x16x128_f8f6f4 a[4:7], v[104:107], v[12:15], a[4:7], v142, v136 op_sel_hi:[0,0,0] cbsz:4 blgp:4// 000000003C9C: D3AC7000 0003118E D3AD8C04 84121968
	s_add_u32 m0, 0x400, s65                                   // 000000003CAC: 807C41FF 00000400
	buffer_load_dword v152, s[20:23], 0 offen lds              // 000000003CB4: E0511000 80050098
	v_mfma_scale_f32_16x16x128_f8f6f4 a[8:11], v[108:111], v[8:11], a[8:11], v142, v136 op_sel_hi:[0,0,0] cbsz:4 blgp:4// 000000003CBC: D3AC4800 0003118E D3AD8C08 8422116C
	ds_read_b128 v[48:51], v150 offset:8512                    // 000000003CCC: D9FE2140 30000096
	v_mfma_scale_f32_16x16x128_f8f6f4 a[12:15], v[108:111], v[12:15], a[12:15], v142, v136 op_sel_hi:[0,0,0] cbsz:4 blgp:4// 000000003CD4: D3AC7800 0003118E D3AD8C0C 8432196C
	s_add_u32 m0, 0x4200, s64                                  // 000000003CE4: 807C40FF 00004200
	buffer_load_dwordx4 v144, s[12:15], 0 offen lds            // 000000003CEC: E05D1000 80030090
	v_mfma_scale_f32_16x16x128_f8f6f4 a[0:3], v[112:115], v[16:19], a[0:3], v142, v136 op_sel_hi:[0,0,0] cbsz:4 blgp:4// 000000003CF4: D3AC4000 1803118E D3AD8C00 84022170
	ds_read_b128 v[44:47], v150 offset:8960                    // 000000003D04: D9FE2300 2C000096
	v_mfma_scale_f32_16x16x128_f8f6f4 a[4:7], v[112:115], v[20:23], a[4:7], v142, v136 op_sel_hi:[0,0,0] cbsz:4 blgp:4// 000000003D0C: D3AC7000 1803118E D3AD8C04 84122970
	s_add_u32 m0, 0x5280, s64                                  // 000000003D1C: 807C40FF 00005280
	buffer_load_dwordx4 v145, s[12:15], 0 offen lds            // 000000003D24: E05D1000 80030091
	v_mfma_scale_f32_16x16x128_f8f6f4 a[8:11], v[116:119], v[16:19], a[8:11], v142, v136 op_sel_hi:[0,0,0] cbsz:4 blgp:4// 000000003D2C: D3AC6800 1803118E D3AD8C08 84222174
	ds_read_b128 v[52:55], v150 offset:9024                    // 000000003D3C: D9FE2340 34000096
	v_mfma_scale_f32_16x16x128_f8f6f4 a[12:15], v[116:119], v[20:23], a[12:15], v142, v136 op_sel_hi:[0,0,0] cbsz:4 blgp:4// 000000003D44: D3AC7800 1803118E D3AD8C0C 84322974
	s_add_u32 m0, 0x6300, s64                                  // 000000003D54: 807C40FF 00006300
	buffer_load_dwordx4 v146, s[12:15], 0 offen lds            // 000000003D5C: E05D1000 80030092
	ds_read_b32 v138, v153 offset:2560                         // 000000003D64: D86C0A00 8A000099
	s_waitcnt lgkmcnt(5)                                       // 000000003D6C: BF8CC57F
	v_mfma_scale_f32_16x16x128_f8f6f4 a[16:19], v[104:107], v[24:27], a[16:19], v142, v137 op_sel_hi:[0,0,0] cbsz:4 blgp:4// 000000003D70: D3AC6000 0003138E D3AD8C10 84423168
	ds_read_b128 v[56:59], v150 offset:12672                   // 000000003D80: D9FE3180 38000096
	v_mfma_scale_f32_16x16x128_f8f6f4 a[20:23], v[104:107], v[28:31], a[20:23], v142, v137 op_sel_hi:[0,0,0] cbsz:4 blgp:4// 000000003D88: D3AC7000 0003138E D3AD8C14 84523968
	s_add_u32 m0, 0x7380, s64                                  // 000000003D98: 807C40FF 00007380
	buffer_load_dwordx4 v147, s[12:15], 0 offen lds            // 000000003DA0: E05D1000 80030093
	v_mfma_scale_f32_16x16x128_f8f6f4 a[24:27], v[108:111], v[24:27], a[24:27], v142, v137 op_sel_hi:[0,0,0] cbsz:4 blgp:4// 000000003DA8: D3AC2800 0003138E D3AD8C18 8462316C
	s_add_u32 s62, 0x400, s60                                  // 000000003DB8: 803E3CFF 00000400
	ds_read_b128 v[64:67], v150 offset:12736                   // 000000003DC0: D9FE31C0 40000096
	v_mfma_scale_f32_16x16x128_f8f6f4 a[28:31], v[108:111], v[28:31], a[28:31], v142, v137 op_sel_hi:[0,0,0] cbsz:4 blgp:4// 000000003DC8: D3AC7800 0003138E D3AD8C1C 8472396C
	s_cmp_lt_u32 s62, s61                                      // 000000003DD8: BF0A3D3E
	s_cselect_b32 s66, s66, 0                                  // 000000003DDC: 85428042
	v_mfma_scale_f32_16x16x128_f8f6f4 a[16:19], v[112:115], v[32:35], a[16:19], v142, v137 op_sel_hi:[0,0,0] cbsz:4 blgp:4// 000000003DE0: D3AC2000 1803138E D3AD8C10 84424170
	s_cselect_b32 s68, s68, 0                                  // 000000003DF0: 85448044
	ds_read_b128 v[60:63], v150 offset:13184                   // 000000003DF4: D9FE3380 3C000096
	v_mfma_scale_f32_16x16x128_f8f6f4 a[20:23], v[112:115], v[36:39], a[20:23], v142, v137 op_sel_hi:[0,0,0] cbsz:4 blgp:4// 000000003DFC: D3AC7000 1803138E D3AD8C14 84524970
	s_add_u32 s12, s12, s66                                    // 000000003E0C: 800C420C
	buffer_load_dwordx4 v[88:91], v154, s[16:19], 0 offen      // 000000003E10: E05C1000 8004589A
	v_mfma_scale_f32_16x16x128_f8f6f4 a[24:27], v[116:119], v[32:35], a[24:27], v142, v137 op_sel_hi:[0,0,0] cbsz:4 blgp:4// 000000003E18: D3AC6800 1803138E D3AD8C18 84624174
	s_addc_u32 s13, 0, s13                                     // 000000003E28: 820D0D80
	ds_read_b128 v[68:71], v150 offset:13248                   // 000000003E2C: D9FE33C0 44000096
	v_mfma_scale_f32_16x16x128_f8f6f4 a[28:31], v[116:119], v[36:39], a[28:31], v142, v137 op_sel_hi:[0,0,0] cbsz:4 blgp:4// 000000003E34: D3AC7800 1803138E D3AD8C1C 84724974
	s_sub_u32 s14, s14, s66                                    // 000000003E44: 808E420E
	s_add_u32 s20, s20, s68                                    // 000000003E48: 80144414
	ds_read_b32 v139, v153 offset:2816                         // 000000003E4C: D86C0B00 8B000099
	s_waitcnt vmcnt(23) lgkmcnt(5)                             // 000000003E54: BF8C4577
	s_barrier                                                  // 000000003E58: BF8A0000
	v_mfma_scale_f32_16x16x128_f8f6f4 a[32:35], v[104:107], v[40:43], a[32:35], v142, v138 op_sel_hi:[0,0,0] cbsz:4 blgp:4// 000000003E5C: D3AC6000 0003158E D3AD8C20 84825168
	s_addc_u32 s21, 0, s21                                     // 000000003E6C: 82151580
	ds_read_b128 v[8:11], v151                                 // 000000003E70: D9FE0000 08000097
	v_mfma_scale_f32_16x16x128_f8f6f4 a[36:39], v[104:107], v[44:47], a[36:39], v142, v138 op_sel_hi:[0,0,0] cbsz:4 blgp:4// 000000003E78: D3AC7000 0003158E D3AD8C24 84925968
	s_sub_u32 s22, s22, s68                                    // 000000003E88: 80964416
	buffer_load_dwordx4 v[92:95], v155, s[16:19], 0 offen      // 000000003E8C: E05C1000 80045C9B
	v_mfma_scale_f32_16x16x128_f8f6f4 a[40:43], v[108:111], v[40:43], a[40:43], v142, v138 op_sel_hi:[0,0,0] cbsz:4 blgp:4// 000000003E94: D3AC6800 0003158E D3AD8C28 84A2516C
	s_add_u32 s63, 0x400, s60                                  // 000000003EA4: 803F3CFF 00000400
	ds_read_b128 v[16:19], v151 offset:64                      // 000000003EAC: D9FE0040 10000097
	v_mfma_scale_f32_16x16x128_f8f6f4 a[44:47], v[108:111], v[44:47], a[44:47], v142, v138 op_sel_hi:[0,0,0] cbsz:4 blgp:4// 000000003EB4: D3AC7800 0003158E D3AD8C2C 84B2596C
	s_cmp_lt_u32 s63, s61                                      // 000000003EC4: BF0A3D3F
	s_cselect_b32 s67, s67, 0                                  // 000000003EC8: 85438043
	v_mfma_scale_f32_16x16x128_f8f6f4 a[32:35], v[112:115], v[48:51], a[32:35], v142, v138 op_sel_hi:[0,0,0] cbsz:4 blgp:4// 000000003ECC: D3AC6000 1803158E D3AD8C20 84826170
	s_cselect_b32 s69, s69, 0                                  // 000000003EDC: 85458045
	ds_read_b128 v[12:15], v151 offset:512                     // 000000003EE0: D9FE0200 0C000097
	v_mfma_scale_f32_16x16x128_f8f6f4 a[36:39], v[112:115], v[52:55], a[36:39], v142, v138 op_sel_hi:[0,0,0] cbsz:4 blgp:4// 000000003EE8: D3AC7000 1803158E D3AD8C24 84926970
	buffer_load_dwordx4 v[96:99], v154, s[16:19], 0 offen offset:1024// 000000003EF8: E05C1400 8004609A
	v_mfma_scale_f32_16x16x128_f8f6f4 a[40:43], v[116:119], v[48:51], a[40:43], v142, v138 op_sel_hi:[0,0,0] cbsz:4 blgp:4// 000000003F00: D3AC6800 1803158E D3AD8C28 84A26174
	ds_read_b128 v[20:23], v151 offset:576                     // 000000003F10: D9FE0240 14000097
	v_mfma_scale_f32_16x16x128_f8f6f4 a[44:47], v[116:119], v[52:55], a[44:47], v142, v138 op_sel_hi:[0,0,0] cbsz:4 blgp:4// 000000003F18: D3AC7800 1803158E D3AD8C2C 84B26974
	ds_read_b32 v136, v153 offset:3072                         // 000000003F28: D86C0C00 88000099
	s_waitcnt lgkmcnt(5)                                       // 000000003F30: BF8CC57F
	v_mfma_scale_f32_16x16x128_f8f6f4 a[48:51], v[104:107], v[56:59], a[48:51], v142, v139 op_sel_hi:[0,0,0] cbsz:4 blgp:4// 000000003F34: D3AC6000 0003178E D3AD8C30 84C27168
	ds_read_b128 v[24:27], v151 offset:4224                    // 000000003F44: D9FE1080 18000097
	v_mfma_scale_f32_16x16x128_f8f6f4 a[52:55], v[104:107], v[60:63], a[52:55], v142, v139 op_sel_hi:[0,0,0] cbsz:4 blgp:4// 000000003F4C: D3AC7000 0003178E D3AD8C34 84D27968
	buffer_load_dwordx4 v[100:103], v155, s[16:19], 0 offen offset:1024// 000000003F5C: E05C1400 8004649B
	v_mfma_scale_f32_16x16x128_f8f6f4 a[56:59], v[108:111], v[56:59], a[56:59], v142, v139 op_sel_hi:[0,0,0] cbsz:4 blgp:4// 000000003F64: D3AC6800 0003178E D3AD8C38 84E2716C
	ds_read_b128 v[32:35], v151 offset:4288                    // 000000003F74: D9FE10C0 20000097
	v_mfma_scale_f32_16x16x128_f8f6f4 a[60:63], v[108:111], v[60:63], a[60:63], v142, v139 op_sel_hi:[0,0,0] cbsz:4 blgp:4// 000000003F7C: D3AC7800 0003178E D3AD8C3C 84F2796C
	v_mfma_scale_f32_16x16x128_f8f6f4 a[48:51], v[112:115], v[64:67], a[48:51], v142, v139 op_sel_hi:[0,0,0] cbsz:4 blgp:4// 000000003F8C: D3AC6000 1803178E D3AD8C30 84C28170
	ds_read_b128 v[28:31], v151 offset:4736                    // 000000003F9C: D9FE1280 1C000097
	v_mfma_scale_f32_16x16x128_f8f6f4 a[52:55], v[112:115], v[68:71], a[52:55], v142, v139 op_sel_hi:[0,0,0] cbsz:4 blgp:4// 000000003FA4: D3AC7000 1803178E D3AD8C34 84D28970
	buffer_load_dword v141, v156, s[24:27], 0 offen            // 000000003FB4: E0501000 80068D9C
	v_mfma_scale_f32_16x16x128_f8f6f4 a[56:59], v[116:119], v[64:67], a[56:59], v142, v139 op_sel_hi:[0,0,0] cbsz:4 blgp:4// 000000003FBC: D3AC6800 1803178E D3AD8C38 84E28174
	s_add_u32 s16, s16, s67                                    // 000000003FCC: 80104310
	ds_read_b128 v[36:39], v151 offset:4800                    // 000000003FD0: D9FE12C0 24000097
	v_mfma_scale_f32_16x16x128_f8f6f4 a[60:63], v[116:119], v[68:71], a[60:63], v142, v139 op_sel_hi:[0,0,0] cbsz:4 blgp:4// 000000003FD8: D3AC3800 1803178E D3AD8C3C 84F28974
	s_addc_u32 s17, 0, s17                                     // 000000003FE8: 82111180
	s_sub_u32 s18, s18, s67                                    // 000000003FEC: 80924312
	ds_read_b32 v137, v153 offset:3328                         // 000000003FF0: D86C0D00 89000099
	s_add_u32 s24, s24, s69                                    // 000000003FF8: 80184518
	s_addc_u32 s25, 0, s25                                     // 000000003FFC: 82191980
	s_sub_u32 s26, s26, s69                                    // 000000004000: 809A451A
	s_addk_i32 s60, 0x100                                      // 000000004004: B73C0100
	s_cmp_lt_i32 s60, s61                                      // 000000004008: BF043D3C
	s_cbranch_scc0 label_097D                                  // 00000000400C: BF840479
	s_waitcnt vmcnt(20) lgkmcnt(5)                             // 000000004010: BF8C4574
	s_barrier                                                  // 000000004014: BF8A0000
	v_mfma_scale_f32_16x16x128_f8f6f4 a[0:3], v[120:123], v[8:11], a[0:3], v143, v136 op_sel_hi:[0,0,0] cbsz:4 blgp:4// 000000004018: D3AC6000 0003118F D3AD8C00 84021178
	ds_read_b128 v[40:43], v151 offset:8448                    // 000000004028: D9FE2100 28000097
	v_mfma_scale_f32_16x16x128_f8f6f4 a[4:7], v[120:123], v[12:15], a[4:7], v143, v136 op_sel_hi:[0,0,0] cbsz:4 blgp:4// 000000004030: D3AC7000 0003118F D3AD8C04 84121978
	s_add_u32 m0, 0x800, s65                                   // 000000004040: 807C41FF 00000800
	buffer_load_dword v152, s[20:23], 0 offen lds              // 000000004048: E0511000 80050098
	v_mfma_scale_f32_16x16x128_f8f6f4 a[8:11], v[124:127], v[8:11], a[8:11], v143, v136 op_sel_hi:[0,0,0] cbsz:4 blgp:4// 000000004050: D3AC6800 0003118F D3AD8C08 8422117C
	ds_read_b128 v[48:51], v151 offset:8512                    // 000000004060: D9FE2140 30000097
	v_mfma_scale_f32_16x16x128_f8f6f4 a[12:15], v[124:127], v[12:15], a[12:15], v143, v136 op_sel_hi:[0,0,0] cbsz:4 blgp:4// 000000004068: D3AC7800 0003118F D3AD8C0C 8432197C
	s_add_u32 m0, 0x8400, s64                                  // 000000004078: 807C40FF 00008400
	buffer_load_dwordx4 v144, s[12:15], 0 offen lds            // 000000004080: E05D1000 80030090
	v_mfma_scale_f32_16x16x128_f8f6f4 a[0:3], v[128:131], v[16:19], a[0:3], v143, v136 op_sel_hi:[0,0,0] cbsz:4 blgp:4// 000000004088: D3AC6000 1803118F D3AD8C00 84022180
	ds_read_b128 v[44:47], v151 offset:8960                    // 000000004098: D9FE2300 2C000097
	v_mfma_scale_f32_16x16x128_f8f6f4 a[4:7], v[128:131], v[20:23], a[4:7], v143, v136 op_sel_hi:[0,0,0] cbsz:4 blgp:4// 0000000040A0: D3AC7000 1803118F D3AD8C04 84122980
	s_add_u32 m0, 0x9480, s64                                  // 0000000040B0: 807C40FF 00009480
	buffer_load_dwordx4 v145, s[12:15], 0 offen lds            // 0000000040B8: E05D1000 80030091
	v_mfma_scale_f32_16x16x128_f8f6f4 a[8:11], v[132:135], v[16:19], a[8:11], v143, v136 op_sel_hi:[0,0,0] cbsz:4 blgp:4// 0000000040C0: D3AC6800 1803118F D3AD8C08 84222184
	ds_read_b128 v[52:55], v151 offset:9024                    // 0000000040D0: D9FE2340 34000097
	v_mfma_scale_f32_16x16x128_f8f6f4 a[12:15], v[132:135], v[20:23], a[12:15], v143, v136 op_sel_hi:[0,0,0] cbsz:4 blgp:4// 0000000040D8: D3AC7800 1803118F D3AD8C0C 84322984
	s_add_u32 m0, 0xa500, s64                                  // 0000000040E8: 807C40FF 0000A500
	buffer_load_dwordx4 v146, s[12:15], 0 offen lds            // 0000000040F0: E05D1000 80030092
	ds_read_b32 v138, v153 offset:3584                         // 0000000040F8: D86C0E00 8A000099
	s_waitcnt lgkmcnt(5)                                       // 000000004100: BF8CC57F
	v_mfma_scale_f32_16x16x128_f8f6f4 a[16:19], v[120:123], v[24:27], a[16:19], v143, v137 op_sel_hi:[0,0,0] cbsz:4 blgp:4// 000000004104: D3AC6000 0003138F D3AD8C10 84423178
	ds_read_b128 v[56:59], v151 offset:12672                   // 000000004114: D9FE3180 38000097
	v_mfma_scale_f32_16x16x128_f8f6f4 a[20:23], v[120:123], v[28:31], a[20:23], v143, v137 op_sel_hi:[0,0,0] cbsz:4 blgp:4// 00000000411C: D3AC7000 0003138F D3AD8C14 84523978
	s_add_u32 m0, 0xb580, s64                                  // 00000000412C: 807C40FF 0000B580
	buffer_load_dwordx4 v147, s[12:15], 0 offen lds            // 000000004134: E05D1000 80030093
	v_mfma_scale_f32_16x16x128_f8f6f4 a[24:27], v[124:127], v[24:27], a[24:27], v143, v137 op_sel_hi:[0,0,0] cbsz:4 blgp:4// 00000000413C: D3AC6800 0003138F D3AD8C18 8462317C
	s_add_u32 s62, 0x400, s60                                  // 00000000414C: 803E3CFF 00000400
	ds_read_b128 v[64:67], v151 offset:12736                   // 000000004154: D9FE31C0 40000097
	v_mfma_scale_f32_16x16x128_f8f6f4 a[28:31], v[124:127], v[28:31], a[28:31], v143, v137 op_sel_hi:[0,0,0] cbsz:4 blgp:4// 00000000415C: D3AC7800 0003138F D3AD8C1C 8472397C
	s_cmp_lt_u32 s62, s61                                      // 00000000416C: BF0A3D3E
	s_cselect_b32 s66, s66, 0                                  // 000000004170: 85428042
	v_mfma_scale_f32_16x16x128_f8f6f4 a[16:19], v[128:131], v[32:35], a[16:19], v143, v137 op_sel_hi:[0,0,0] cbsz:4 blgp:4// 000000004174: D3AC6000 1803138F D3AD8C10 84424180
	s_cselect_b32 s68, s68, 0                                  // 000000004184: 85448044
	ds_read_b128 v[60:63], v151 offset:13184                   // 000000004188: D9FE3380 3C000097
	v_mfma_scale_f32_16x16x128_f8f6f4 a[20:23], v[128:131], v[36:39], a[20:23], v143, v137 op_sel_hi:[0,0,0] cbsz:4 blgp:4// 000000004190: D3AC7000 1803138F D3AD8C14 84524980
	s_add_u32 s12, s12, s66                                    // 0000000041A0: 800C420C
	buffer_load_dwordx4 v[104:107], v154, s[16:19], 0 offen    // 0000000041A4: E05C1000 8004689A
	v_mfma_scale_f32_16x16x128_f8f6f4 a[24:27], v[132:135], v[32:35], a[24:27], v143, v137 op_sel_hi:[0,0,0] cbsz:4 blgp:4// 0000000041AC: D3AC6800 1803138F D3AD8C18 84624184
	s_addc_u32 s13, 0, s13                                     // 0000000041BC: 820D0D80
	ds_read_b128 v[68:71], v151 offset:13248                   // 0000000041C0: D9FE33C0 44000097
	v_mfma_scale_f32_16x16x128_f8f6f4 a[28:31], v[132:135], v[36:39], a[28:31], v143, v137 op_sel_hi:[0,0,0] cbsz:4 blgp:4// 0000000041C8: D3AC7800 1803138F D3AD8C1C 84724984
	s_sub_u32 s14, s14, s66                                    // 0000000041D8: 808E420E
	s_add_u32 s20, s20, s68                                    // 0000000041DC: 80144414
	ds_read_b32 v139, v153 offset:3840                         // 0000000041E0: D86C0F00 8B000099
	s_waitcnt vmcnt(23) lgkmcnt(5)                             // 0000000041E8: BF8C4577
	s_barrier                                                  // 0000000041EC: BF8A0000
	v_mfma_scale_f32_16x16x128_f8f6f4 a[32:35], v[120:123], v[40:43], a[32:35], v143, v138 op_sel_hi:[0,0,0] cbsz:4 blgp:4// 0000000041F0: D3AC6000 0003158F D3AD8C20 84825178
	s_addc_u32 s21, 0, s21                                     // 000000004200: 82151580
	ds_read_b128 v[8:11], v148                                 // 000000004204: D9FE0000 08000094
	v_mfma_scale_f32_16x16x128_f8f6f4 a[36:39], v[120:123], v[44:47], a[36:39], v143, v138 op_sel_hi:[0,0,0] cbsz:4 blgp:4// 00000000420C: D3AC7000 0003158F D3AD8C24 84925978
	s_sub_u32 s22, s22, s68                                    // 00000000421C: 80964416
	buffer_load_dwordx4 v[108:111], v155, s[16:19], 0 offen    // 000000004220: E05C1000 80046C9B
	v_mfma_scale_f32_16x16x128_f8f6f4 a[40:43], v[124:127], v[40:43], a[40:43], v143, v138 op_sel_hi:[0,0,0] cbsz:4 blgp:4// 000000004228: D3AC6800 0003158F D3AD8C28 84A2517C
	s_add_u32 s63, 0x400, s60                                  // 000000004238: 803F3CFF 00000400
	ds_read_b128 v[16:19], v148 offset:64                      // 000000004240: D9FE0040 10000094
	v_mfma_scale_f32_16x16x128_f8f6f4 a[44:47], v[124:127], v[44:47], a[44:47], v143, v138 op_sel_hi:[0,0,0] cbsz:4 blgp:4// 000000004248: D3AC7800 0003158F D3AD8C2C 84B2597C
	s_cmp_lt_u32 s63, s61                                      // 000000004258: BF0A3D3F
	s_cselect_b32 s67, s67, 0                                  // 00000000425C: 85438043
	v_mfma_scale_f32_16x16x128_f8f6f4 a[32:35], v[128:131], v[48:51], a[32:35], v143, v138 op_sel_hi:[0,0,0] cbsz:4 blgp:4// 000000004260: D3AC6000 1803158F D3AD8C20 84826180
	s_cselect_b32 s69, s69, 0                                  // 000000004270: 85458045
	ds_read_b128 v[12:15], v148 offset:512                     // 000000004274: D9FE0200 0C000094
	v_mfma_scale_f32_16x16x128_f8f6f4 a[36:39], v[128:131], v[52:55], a[36:39], v143, v138 op_sel_hi:[0,0,0] cbsz:4 blgp:4// 00000000427C: D3AC7000 1803158F D3AD8C24 84926980
	buffer_load_dwordx4 v[112:115], v154, s[16:19], 0 offen offset:1024// 00000000428C: E05C1400 8004709A
	v_mfma_scale_f32_16x16x128_f8f6f4 a[40:43], v[132:135], v[48:51], a[40:43], v143, v138 op_sel_hi:[0,0,0] cbsz:4 blgp:4// 000000004294: D3AC6800 1803158F D3AD8C28 84A26184
	ds_read_b128 v[20:23], v148 offset:576                     // 0000000042A4: D9FE0240 14000094
	v_mfma_scale_f32_16x16x128_f8f6f4 a[44:47], v[132:135], v[52:55], a[44:47], v143, v138 op_sel_hi:[0,0,0] cbsz:4 blgp:4// 0000000042AC: D3AC7800 1803158F D3AD8C2C 84B26984
	ds_read_b32 v136, v153                                     // 0000000042BC: D86C0000 88000099
	s_waitcnt lgkmcnt(5)                                       // 0000000042C4: BF8CC57F
	v_mfma_scale_f32_16x16x128_f8f6f4 a[48:51], v[120:123], v[56:59], a[48:51], v143, v139 op_sel_hi:[0,0,0] cbsz:4 blgp:4// 0000000042C8: D3AC6000 0003178F D3AD8C30 84C27178
	ds_read_b128 v[24:27], v148 offset:4224                    // 0000000042D8: D9FE1080 18000094
	v_mfma_scale_f32_16x16x128_f8f6f4 a[52:55], v[120:123], v[60:63], a[52:55], v143, v139 op_sel_hi:[0,0,0] cbsz:4 blgp:4// 0000000042E0: D3AC7000 0003178F D3AD8C34 84D27978
	buffer_load_dwordx4 v[116:119], v155, s[16:19], 0 offen offset:1024// 0000000042F0: E05C1400 8004749B
	v_mfma_scale_f32_16x16x128_f8f6f4 a[56:59], v[124:127], v[56:59], a[56:59], v143, v139 op_sel_hi:[0,0,0] cbsz:4 blgp:4// 0000000042F8: D3AC6800 0003178F D3AD8C38 84E2717C
	ds_read_b128 v[32:35], v148 offset:4288                    // 000000004308: D9FE10C0 20000094
	v_mfma_scale_f32_16x16x128_f8f6f4 a[60:63], v[124:127], v[60:63], a[60:63], v143, v139 op_sel_hi:[0,0,0] cbsz:4 blgp:4// 000000004310: D3AC7800 0003178F D3AD8C3C 84F2797C
	v_mfma_scale_f32_16x16x128_f8f6f4 a[48:51], v[128:131], v[64:67], a[48:51], v143, v139 op_sel_hi:[0,0,0] cbsz:4 blgp:4// 000000004320: D3AC6000 1803178F D3AD8C30 84C28180
	ds_read_b128 v[28:31], v148 offset:4736                    // 000000004330: D9FE1280 1C000094
	v_mfma_scale_f32_16x16x128_f8f6f4 a[52:55], v[128:131], v[68:71], a[52:55], v143, v139 op_sel_hi:[0,0,0] cbsz:4 blgp:4// 000000004338: D3AC7000 1803178F D3AD8C34 84D28980
	buffer_load_dword v142, v156, s[24:27], 0 offen            // 000000004348: E0501000 80068E9C
	v_mfma_scale_f32_16x16x128_f8f6f4 a[56:59], v[132:135], v[64:67], a[56:59], v143, v139 op_sel_hi:[0,0,0] cbsz:4 blgp:4// 000000004350: D3AC6800 1803178F D3AD8C38 84E28184
	s_add_u32 s16, s16, s67                                    // 000000004360: 80104310
	ds_read_b128 v[36:39], v148 offset:4800                    // 000000004364: D9FE12C0 24000094
	v_mfma_scale_f32_16x16x128_f8f6f4 a[60:63], v[132:135], v[68:71], a[60:63], v143, v139 op_sel_hi:[0,0,0] cbsz:4 blgp:4// 00000000436C: D3AC7800 1803178F D3AD8C3C 84F28984
	s_addc_u32 s17, 0, s17                                     // 00000000437C: 82111180
	s_sub_u32 s18, s18, s67                                    // 000000004380: 80924312
	ds_read_b32 v137, v153 offset:256                          // 000000004384: D86C0100 89000099
	s_add_u32 s24, s24, s69                                    // 00000000438C: 80184518
	s_addc_u32 s25, 0, s25                                     // 000000004390: 82191980
	s_sub_u32 s26, s26, s69                                    // 000000004394: 809A451A
	s_addk_i32 s60, 0x100                                      // 000000004398: B73C0100
	s_cmp_lt_i32 s60, s61                                      // 00000000439C: BF043D3C
	s_cbranch_scc0 label_097D                                  // 0000000043A0: BF840394
	s_branch label_0257                                        // 0000000043A4: BF82FC6D

00000000000043a8 <label_05EA>:
	s_waitcnt vmcnt(20) lgkmcnt(5)                             // 0000000043A8: BF8C4574
	s_barrier                                                  // 0000000043AC: BF8A0000
	v_mfma_scale_f32_16x16x128_f8f6f4 a[0:3], v[72:75], v[8:11], a[0:3], v140, v136 op_sel_hi:[0,0,0] cbsz:4 blgp:4// 0000000043B0: D3AC6000 0003118C D3AD8C00 84021148
	s_add_u32 m0, 0xc00, s65                                   // 0000000043C0: 807C41FF 00000C00
	buffer_load_dword v152, s[20:23], 0 offen lds              // 0000000043C8: E0511000 80050098
	v_mfma_scale_f32_16x16x128_f8f6f4 a[4:7], v[72:75], v[12:15], a[4:7], v140, v136 op_sel_hi:[0,0,0] cbsz:4 blgp:4// 0000000043D0: D3AC7000 0003118C D3AD8C04 84121948
	ds_read_b128 v[40:43], v148 offset:8448                    // 0000000043E0: D9FE2100 28000094
	v_mfma_scale_f32_16x16x128_f8f6f4 a[8:11], v[76:79], v[8:11], a[8:11], v140, v136 op_sel_hi:[0,0,0] cbsz:4 blgp:4// 0000000043E8: D3AC6800 0003118C D3AD8C08 8422114C
	s_add_u32 m0, 0xc600, s64                                  // 0000000043F8: 807C40FF 0000C600
	buffer_load_dwordx4 v144, s[12:15], 0 offen lds            // 000000004400: E05D1000 80030090
	v_mfma_scale_f32_16x16x128_f8f6f4 a[12:15], v[76:79], v[12:15], a[12:15], v140, v136 op_sel_hi:[0,0,0] cbsz:4 blgp:4// 000000004408: D3AC7800 0003118C D3AD8C0C 8432194C
	ds_read_b128 v[48:51], v148 offset:8512                    // 000000004418: D9FE2140 30000094
	v_mfma_scale_f32_16x16x128_f8f6f4 a[0:3], v[80:83], v[16:19], a[0:3], v140, v136 op_sel_hi:[0,0,0] cbsz:4 blgp:4// 000000004420: D3AC6000 1803118C D3AD8C00 84022150
	s_add_u32 m0, 0xd680, s64                                  // 000000004430: 807C40FF 0000D680
	buffer_load_dwordx4 v145, s[12:15], 0 offen lds            // 000000004438: E05D1000 80030091
	v_mfma_scale_f32_16x16x128_f8f6f4 a[4:7], v[80:83], v[20:23], a[4:7], v140, v136 op_sel_hi:[0,0,0] cbsz:4 blgp:4// 000000004440: D3AC7000 1803118C D3AD8C04 84122950
	ds_read_b128 v[44:47], v148 offset:8960                    // 000000004450: D9FE2300 2C000094
	v_mfma_scale_f32_16x16x128_f8f6f4 a[8:11], v[84:87], v[16:19], a[8:11], v140, v136 op_sel_hi:[0,0,0] cbsz:4 blgp:4// 000000004458: D3AC6800 1803118C D3AD8C08 84222154
	s_add_u32 m0, 0xe700, s64                                  // 000000004468: 807C40FF 0000E700
	buffer_load_dwordx4 v146, s[12:15], 0 offen lds            // 000000004470: E05D1000 80030092
	v_mfma_scale_f32_16x16x128_f8f6f4 a[12:15], v[84:87], v[20:23], a[12:15], v140, v136 op_sel_hi:[0,0,0] cbsz:4 blgp:4// 000000004478: D3AC7800 1803118C D3AD8C0C 84322954
	ds_read_b128 v[52:55], v148 offset:9024                    // 000000004488: D9FE2340 34000094
	ds_read_b32 v138, v153 offset:512                          // 000000004490: D86C0200 8A000099
	s_waitcnt lgkmcnt(5)                                       // 000000004498: BF8CC57F
	v_mfma_scale_f32_16x16x128_f8f6f4 a[16:19], v[72:75], v[24:27], a[16:19], v140, v137 op_sel_hi:[0,0,0] cbsz:4 blgp:4// 00000000449C: D3AC6000 0003138C D3AD8C10 84423148
	s_add_u32 m0, 0xf780, s64                                  // 0000000044AC: 807C40FF 0000F780
	buffer_load_dwordx4 v147, s[12:15], 0 offen lds            // 0000000044B4: E05D1000 80030093
	v_mfma_scale_f32_16x16x128_f8f6f4 a[20:23], v[72:75], v[28:31], a[20:23], v140, v137 op_sel_hi:[0,0,0] cbsz:4 blgp:4// 0000000044BC: D3AC7000 0003138C D3AD8C14 84523948
	s_add_u32 s62, 0x400, s60                                  // 0000000044CC: 803E3CFF 00000400
	ds_read_b128 v[56:59], v148 offset:12672                   // 0000000044D4: D9FE3180 38000094
	v_mfma_scale_f32_16x16x128_f8f6f4 a[24:27], v[76:79], v[24:27], a[24:27], v140, v137 op_sel_hi:[0,0,0] cbsz:4 blgp:4// 0000000044DC: D3AC6800 0003138C D3AD8C18 8462314C
	s_cmp_lt_u32 s62, s61                                      // 0000000044EC: BF0A3D3E
	s_cselect_b32 s66, s66, 0                                  // 0000000044F0: 85428042
	v_mfma_scale_f32_16x16x128_f8f6f4 a[28:31], v[76:79], v[28:31], a[28:31], v140, v137 op_sel_hi:[0,0,0] cbsz:4 blgp:4// 0000000044F4: D3AC7800 0003138C D3AD8C1C 8472394C
	s_cselect_b32 s68, s68, 0                                  // 000000004504: 85448044
	ds_read_b128 v[64:67], v148 offset:12736                   // 000000004508: D9FE31C0 40000094
	v_mfma_scale_f32_16x16x128_f8f6f4 a[16:19], v[80:83], v[32:35], a[16:19], v140, v137 op_sel_hi:[0,0,0] cbsz:4 blgp:4// 000000004510: D3AC6000 1803138C D3AD8C10 84424150
	s_add_u32 s12, s12, s66                                    // 000000004520: 800C420C
	buffer_load_dwordx4 v[120:123], v154, s[16:19], 0 offen    // 000000004524: E05C1000 8004789A
	v_mfma_scale_f32_16x16x128_f8f6f4 a[20:23], v[80:83], v[36:39], a[20:23], v140, v137 op_sel_hi:[0,0,0] cbsz:4 blgp:4// 00000000452C: D3AC7000 1803138C D3AD8C14 84524950
	s_addc_u32 s13, 0, s13                                     // 00000000453C: 820D0D80
	ds_read_b128 v[60:63], v148 offset:13184                   // 000000004540: D9FE3380 3C000094
	v_mfma_scale_f32_16x16x128_f8f6f4 a[24:27], v[84:87], v[32:35], a[24:27], v140, v137 op_sel_hi:[0,0,0] cbsz:4 blgp:4// 000000004548: D3AC6800 1803138C D3AD8C18 84624154
	s_sub_u32 s14, s14, s66                                    // 000000004558: 808E420E
	s_add_u32 s20, s20, s68                                    // 00000000455C: 80144414
	v_mfma_scale_f32_16x16x128_f8f6f4 a[28:31], v[84:87], v[36:39], a[28:31], v140, v137 op_sel_hi:[0,0,0] cbsz:4 blgp:4// 000000004560: D3AC7800 1803138C D3AD8C1C 84724954
	s_addc_u32 s21, 0, s21                                     // 000000004570: 82151580
	ds_read_b128 v[68:71], v148 offset:13248                   // 000000004574: D9FE33C0 44000094
	ds_read_b32 v139, v153 offset:768                          // 00000000457C: D86C0300 8B000099
	s_waitcnt vmcnt(23) lgkmcnt(5)                             // 000000004584: BF8C4577
	s_barrier                                                  // 000000004588: BF8A0000
	v_mfma_scale_f32_16x16x128_f8f6f4 a[32:35], v[72:75], v[40:43], a[32:35], v140, v138 op_sel_hi:[0,0,0] cbsz:4 blgp:4// 00000000458C: D3AC6000 0003158C D3AD8C20 84825148
	s_sub_u32 s22, s22, s68                                    // 00000000459C: 80964416
	buffer_load_dwordx4 v[124:127], v155, s[16:19], 0 offen    // 0000000045A0: E05C1000 80047C9B
	v_mfma_scale_f32_16x16x128_f8f6f4 a[36:39], v[72:75], v[44:47], a[36:39], v140, v138 op_sel_hi:[0,0,0] cbsz:4 blgp:4// 0000000045A8: D3AC7000 0003158C D3AD8C24 84925948
	s_add_u32 s63, 0x400, s60                                  // 0000000045B8: 803F3CFF 00000400
	ds_read_b128 v[8:11], v149                                 // 0000000045C0: D9FE0000 08000095
	v_mfma_scale_f32_16x16x128_f8f6f4 a[40:43], v[76:79], v[40:43], a[40:43], v140, v138 op_sel_hi:[0,0,0] cbsz:4 blgp:4// 0000000045C8: D3AC6800 0003158C D3AD8C28 84A2514C
	s_cmp_lt_u32 s63, s61                                      // 0000000045D8: BF0A3D3F
	s_cselect_b32 s67, s67, 0                                  // 0000000045DC: 85438043
	v_mfma_scale_f32_16x16x128_f8f6f4 a[44:47], v[76:79], v[44:47], a[44:47], v140, v138 op_sel_hi:[0,0,0] cbsz:4 blgp:4// 0000000045E0: D3AC7800 0003158C D3AD8C2C 84B2594C
	s_cselect_b32 s69, s69, 0                                  // 0000000045F0: 85458045
	ds_read_b128 v[16:19], v149 offset:64                      // 0000000045F4: D9FE0040 10000095
	v_mfma_scale_f32_16x16x128_f8f6f4 a[32:35], v[80:83], v[48:51], a[32:35], v140, v138 op_sel_hi:[0,0,0] cbsz:4 blgp:4// 0000000045FC: D3AC6000 1803158C D3AD8C20 84826150
	buffer_load_dwordx4 v[128:131], v154, s[16:19], 0 offen offset:1024// 00000000460C: E05C1400 8004809A
	v_mfma_scale_f32_16x16x128_f8f6f4 a[36:39], v[80:83], v[52:55], a[36:39], v140, v138 op_sel_hi:[0,0,0] cbsz:4 blgp:4// 000000004614: D3AC7000 1803158C D3AD8C24 84926950
	ds_read_b128 v[12:15], v149 offset:512                     // 000000004624: D9FE0200 0C000095
	v_mfma_scale_f32_16x16x128_f8f6f4 a[40:43], v[84:87], v[48:51], a[40:43], v140, v138 op_sel_hi:[0,0,0] cbsz:4 blgp:4// 00000000462C: D3AC6800 1803158C D3AD8C28 84A26154
	v_mfma_scale_f32_16x16x128_f8f6f4 a[44:47], v[84:87], v[52:55], a[44:47], v140, v138 op_sel_hi:[0,0,0] cbsz:4 blgp:4// 00000000463C: D3AC7800 1803158C D3AD8C2C 84B26954
	ds_read_b128 v[20:23], v149 offset:576                     // 00000000464C: D9FE0240 14000095
	ds_read_b32 v136, v153 offset:1024                         // 000000004654: D86C0400 88000099
	s_waitcnt lgkmcnt(5)                                       // 00000000465C: BF8CC57F
	v_mfma_scale_f32_16x16x128_f8f6f4 a[48:51], v[72:75], v[56:59], a[48:51], v140, v139 op_sel_hi:[0,0,0] cbsz:4 blgp:4// 000000004660: D3AC6000 0003178C D3AD8C30 84C27148
	buffer_load_dwordx4 v[132:135], v155, s[16:19], 0 offen offset:1024// 000000004670: E05C1400 8004849B
	v_mfma_scale_f32_16x16x128_f8f6f4 a[52:55], v[72:75], v[60:63], a[52:55], v140, v139 op_sel_hi:[0,0,0] cbsz:4 blgp:4// 000000004678: D3AC7000 0003178C D3AD8C34 84D27948
	ds_read_b128 v[24:27], v149 offset:4224                    // 000000004688: D9FE1080 18000095
	v_mfma_scale_f32_16x16x128_f8f6f4 a[56:59], v[76:79], v[56:59], a[56:59], v140, v139 op_sel_hi:[0,0,0] cbsz:4 blgp:4// 000000004690: D3AC6800 0003178C D3AD8C38 84E2714C
	v_mfma_scale_f32_16x16x128_f8f6f4 a[60:63], v[76:79], v[60:63], a[60:63], v140, v139 op_sel_hi:[0,0,0] cbsz:4 blgp:4// 0000000046A0: D3AC7800 0003178C D3AD8C3C 84F2794C
	ds_read_b128 v[32:35], v149 offset:4288                    // 0000000046B0: D9FE10C0 20000095
	v_mfma_scale_f32_16x16x128_f8f6f4 a[48:51], v[80:83], v[64:67], a[48:51], v140, v139 op_sel_hi:[0,0,0] cbsz:4 blgp:4// 0000000046B8: D3AC6000 1803178C D3AD8C30 84C28150
	buffer_load_dword v143, v156, s[24:27], 0 offen            // 0000000046C8: E0501000 80068F9C
	v_mfma_scale_f32_16x16x128_f8f6f4 a[52:55], v[80:83], v[68:71], a[52:55], v140, v139 op_sel_hi:[0,0,0] cbsz:4 blgp:4// 0000000046D0: D3AC7000 1803178C D3AD8C34 84D28950
	s_add_u32 s16, s16, s67                                    // 0000000046E0: 80104310
	ds_read_b128 v[28:31], v149 offset:4736                    // 0000000046E4: D9FE1280 1C000095
	v_mfma_scale_f32_16x16x128_f8f6f4 a[56:59], v[84:87], v[64:67], a[56:59], v140, v139 op_sel_hi:[0,0,0] cbsz:4 blgp:4// 0000000046EC: D3AC6800 1803178C D3AD8C38 84E28154
	s_addc_u32 s17, 0, s17                                     // 0000000046FC: 82111180
	s_sub_u32 s18, s18, s67                                    // 000000004700: 80924312
	v_mfma_scale_f32_16x16x128_f8f6f4 a[60:63], v[84:87], v[68:71], a[60:63], v140, v139 op_sel_hi:[0,0,0] cbsz:4 blgp:4// 000000004704: D3AC7800 1803178C D3AD8C3C 84F28954
	s_add_u32 s24, s24, s69                                    // 000000004714: 80184518
	ds_read_b128 v[36:39], v149 offset:4800                    // 000000004718: D9FE12C0 24000095
	ds_read_b32 v137, v153 offset:1280                         // 000000004720: D86C0500 89000099
	s_addc_u32 s25, 0, s25                                     // 000000004728: 82191980
	s_sub_u32 s26, s26, s69                                    // 00000000472C: 809A451A
	s_addk_i32 s60, 0x100                                      // 000000004730: B73C0100
	s_cmp_lt_i32 s60, s61                                      // 000000004734: BF043D3C
	s_cbranch_scc0 label_097D                                  // 000000004738: BF8402AE
	s_waitcnt vmcnt(20) lgkmcnt(5)                             // 00000000473C: BF8C4574
	s_barrier                                                  // 000000004740: BF8A0000
	v_mfma_scale_f32_16x16x128_f8f6f4 a[0:3], v[88:91], v[8:11], a[0:3], v141, v136 op_sel_hi:[0,0,0] cbsz:4 blgp:4// 000000004744: D3AC6000 0003118D D3AD8C00 84021158
	s_add_u32 m0, 0, s65                                       // 000000004754: 807C4180
	buffer_load_dword v152, s[20:23], 0 offen lds              // 000000004758: E0511000 80050098
	v_mfma_scale_f32_16x16x128_f8f6f4 a[4:7], v[88:91], v[12:15], a[4:7], v141, v136 op_sel_hi:[0,0,0] cbsz:4 blgp:4// 000000004760: D3AC7000 0003118D D3AD8C04 84121958
	ds_read_b128 v[40:43], v149 offset:8448                    // 000000004770: D9FE2100 28000095
	v_mfma_scale_f32_16x16x128_f8f6f4 a[8:11], v[92:95], v[8:11], a[8:11], v141, v136 op_sel_hi:[0,0,0] cbsz:4 blgp:4// 000000004778: D3AC6800 0003118D D3AD8C08 8422115C
	s_add_u32 m0, 0, s64                                       // 000000004788: 807C4080
	buffer_load_dwordx4 v144, s[12:15], 0 offen lds            // 00000000478C: E05D1000 80030090
	v_mfma_scale_f32_16x16x128_f8f6f4 a[12:15], v[92:95], v[12:15], a[12:15], v141, v136 op_sel_hi:[0,0,0] cbsz:4 blgp:4// 000000004794: D3AC7800 0003118D D3AD8C0C 8432195C
	ds_read_b128 v[48:51], v149 offset:8512                    // 0000000047A4: D9FE2140 30000095
	v_mfma_scale_f32_16x16x128_f8f6f4 a[0:3], v[96:99], v[16:19], a[0:3], v141, v136 op_sel_hi:[0,0,0] cbsz:4 blgp:4// 0000000047AC: D3AC6000 1803118D D3AD8C00 84022160
	s_add_u32 m0, 0x1080, s64                                  // 0000000047BC: 807C40FF 00001080
	buffer_load_dwordx4 v145, s[12:15], 0 offen lds            // 0000000047C4: E05D1000 80030091
	v_mfma_scale_f32_16x16x128_f8f6f4 a[4:7], v[96:99], v[20:23], a[4:7], v141, v136 op_sel_hi:[0,0,0] cbsz:4 blgp:4// 0000000047CC: D3AC7000 1803118D D3AD8C04 84122960
	ds_read_b128 v[44:47], v149 offset:8960                    // 0000000047DC: D9FE2300 2C000095
	v_mfma_scale_f32_16x16x128_f8f6f4 a[8:11], v[100:103], v[16:19], a[8:11], v141, v136 op_sel_hi:[0,0,0] cbsz:4 blgp:4// 0000000047E4: D3AC6800 1803118D D3AD8C08 84222164
	s_add_u32 m0, 0x2100, s64                                  // 0000000047F4: 807C40FF 00002100
	buffer_load_dwordx4 v146, s[12:15], 0 offen lds            // 0000000047FC: E05D1000 80030092
	v_mfma_scale_f32_16x16x128_f8f6f4 a[12:15], v[100:103], v[20:23], a[12:15], v141, v136 op_sel_hi:[0,0,0] cbsz:4 blgp:4// 000000004804: D3AC7800 1803118D D3AD8C0C 84322964
	ds_read_b128 v[52:55], v149 offset:9024                    // 000000004814: D9FE2340 34000095
	ds_read_b32 v138, v153 offset:1536                         // 00000000481C: D86C0600 8A000099
	s_waitcnt lgkmcnt(5)                                       // 000000004824: BF8CC57F
	v_mfma_scale_f32_16x16x128_f8f6f4 a[16:19], v[88:91], v[24:27], a[16:19], v141, v137 op_sel_hi:[0,0,0] cbsz:4 blgp:4// 000000004828: D3AC6000 0003138D D3AD8C10 84423158
	s_add_u32 m0, 0x3180, s64                                  // 000000004838: 807C40FF 00003180
	buffer_load_dwordx4 v147, s[12:15], 0 offen lds            // 000000004840: E05D1000 80030093
	v_mfma_scale_f32_16x16x128_f8f6f4 a[20:23], v[88:91], v[28:31], a[20:23], v141, v137 op_sel_hi:[0,0,0] cbsz:4 blgp:4// 000000004848: D3AC7000 0003138D D3AD8C14 84523958
	s_add_u32 s62, 0x400, s60                                  // 000000004858: 803E3CFF 00000400
	ds_read_b128 v[56:59], v149 offset:12672                   // 000000004860: D9FE3180 38000095
	v_mfma_scale_f32_16x16x128_f8f6f4 a[24:27], v[92:95], v[24:27], a[24:27], v141, v137 op_sel_hi:[0,0,0] cbsz:4 blgp:4// 000000004868: D3AC6800 0003138D D3AD8C18 8462315C
	s_cmp_lt_u32 s62, s61                                      // 000000004878: BF0A3D3E
	s_cselect_b32 s66, s66, 0                                  // 00000000487C: 85428042
	v_mfma_scale_f32_16x16x128_f8f6f4 a[28:31], v[92:95], v[28:31], a[28:31], v141, v137 op_sel_hi:[0,0,0] cbsz:4 blgp:4// 000000004880: D3AC7800 0003138D D3AD8C1C 8472395C
	s_cselect_b32 s68, s68, 0                                  // 000000004890: 85448044
	ds_read_b128 v[64:67], v149 offset:12736                   // 000000004894: D9FE31C0 40000095
	v_mfma_scale_f32_16x16x128_f8f6f4 a[16:19], v[96:99], v[32:35], a[16:19], v141, v137 op_sel_hi:[0,0,0] cbsz:4 blgp:4// 00000000489C: D3AC6000 1803138D D3AD8C10 84424160
	s_add_u32 s12, s12, s66                                    // 0000000048AC: 800C420C
	buffer_load_dwordx4 v[72:75], v154, s[16:19], 0 offen      // 0000000048B0: E05C1000 8004489A
	v_mfma_scale_f32_16x16x128_f8f6f4 a[20:23], v[96:99], v[36:39], a[20:23], v141, v137 op_sel_hi:[0,0,0] cbsz:4 blgp:4// 0000000048B8: D3AC7000 1803138D D3AD8C14 84524960
	s_addc_u32 s13, 0, s13                                     // 0000000048C8: 820D0D80
	ds_read_b128 v[60:63], v149 offset:13184                   // 0000000048CC: D9FE3380 3C000095
	v_mfma_scale_f32_16x16x128_f8f6f4 a[24:27], v[100:103], v[32:35], a[24:27], v141, v137 op_sel_hi:[0,0,0] cbsz:4 blgp:4// 0000000048D4: D3AC6800 1803138D D3AD8C18 84624164
	s_sub_u32 s14, s14, s66                                    // 0000000048E4: 808E420E
	s_add_u32 s20, s20, s68                                    // 0000000048E8: 80144414
	v_mfma_scale_f32_16x16x128_f8f6f4 a[28:31], v[100:103], v[36:39], a[28:31], v141, v137 op_sel_hi:[0,0,0] cbsz:4 blgp:4// 0000000048EC: D3AC7800 1803138D D3AD8C1C 84724964
	s_addc_u32 s21, 0, s21                                     // 0000000048FC: 82151580
	ds_read_b128 v[68:71], v149 offset:13248                   // 000000004900: D9FE33C0 44000095
	ds_read_b32 v139, v153 offset:1792                         // 000000004908: D86C0700 8B000099
	s_waitcnt vmcnt(23) lgkmcnt(5)                             // 000000004910: BF8C4577
	s_barrier                                                  // 000000004914: BF8A0000
	v_mfma_scale_f32_16x16x128_f8f6f4 a[32:35], v[88:91], v[40:43], a[32:35], v141, v138 op_sel_hi:[0,0,0] cbsz:4 blgp:4// 000000004918: D3AC6000 0003158D D3AD8C20 84825158
	s_sub_u32 s22, s22, s68                                    // 000000004928: 80964416
	buffer_load_dwordx4 v[76:79], v155, s[16:19], 0 offen      // 00000000492C: E05C1000 80044C9B
	v_mfma_scale_f32_16x16x128_f8f6f4 a[36:39], v[88:91], v[44:47], a[36:39], v141, v138 op_sel_hi:[0,0,0] cbsz:4 blgp:4// 000000004934: D3AC7000 0003158D D3AD8C24 84925958
	s_add_u32 s63, 0x400, s60                                  // 000000004944: 803F3CFF 00000400
	ds_read_b128 v[8:11], v150                                 // 00000000494C: D9FE0000 08000096
	v_mfma_scale_f32_16x16x128_f8f6f4 a[40:43], v[92:95], v[40:43], a[40:43], v141, v138 op_sel_hi:[0,0,0] cbsz:4 blgp:4// 000000004954: D3AC6800 0003158D D3AD8C28 84A2515C
	s_cmp_lt_u32 s63, s61                                      // 000000004964: BF0A3D3F
	s_cselect_b32 s67, s67, 0                                  // 000000004968: 85438043
	v_mfma_scale_f32_16x16x128_f8f6f4 a[44:47], v[92:95], v[44:47], a[44:47], v141, v138 op_sel_hi:[0,0,0] cbsz:4 blgp:4// 00000000496C: D3AC7800 0003158D D3AD8C2C 84B2595C
	s_cselect_b32 s69, s69, 0                                  // 00000000497C: 85458045
	ds_read_b128 v[16:19], v150 offset:64                      // 000000004980: D9FE0040 10000096
	v_mfma_scale_f32_16x16x128_f8f6f4 a[32:35], v[96:99], v[48:51], a[32:35], v141, v138 op_sel_hi:[0,0,0] cbsz:4 blgp:4// 000000004988: D3AC6000 1803158D D3AD8C20 84826160
	buffer_load_dwordx4 v[80:83], v154, s[16:19], 0 offen offset:1024// 000000004998: E05C1400 8004509A
	v_mfma_scale_f32_16x16x128_f8f6f4 a[36:39], v[96:99], v[52:55], a[36:39], v141, v138 op_sel_hi:[0,0,0] cbsz:4 blgp:4// 0000000049A0: D3AC7000 1803158D D3AD8C24 84926960
	ds_read_b128 v[12:15], v150 offset:512                     // 0000000049B0: D9FE0200 0C000096
	v_mfma_scale_f32_16x16x128_f8f6f4 a[40:43], v[100:103], v[48:51], a[40:43], v141, v138 op_sel_hi:[0,0,0] cbsz:4 blgp:4// 0000000049B8: D3AC6800 1803158D D3AD8C28 84A26164
	v_mfma_scale_f32_16x16x128_f8f6f4 a[44:47], v[100:103], v[52:55], a[44:47], v141, v138 op_sel_hi:[0,0,0] cbsz:4 blgp:4// 0000000049C8: D3AC7800 1803158D D3AD8C2C 84B26964
	ds_read_b128 v[20:23], v150 offset:576                     // 0000000049D8: D9FE0240 14000096
	ds_read_b32 v136, v153 offset:2048                         // 0000000049E0: D86C0800 88000099
	s_waitcnt lgkmcnt(5)                                       // 0000000049E8: BF8CC57F
	v_mfma_scale_f32_16x16x128_f8f6f4 a[48:51], v[88:91], v[56:59], a[48:51], v141, v139 op_sel_hi:[0,0,0] cbsz:4 blgp:4// 0000000049EC: D3AC6000 0003178D D3AD8C30 84C27158
	buffer_load_dwordx4 v[84:87], v155, s[16:19], 0 offen offset:1024// 0000000049FC: E05C1400 8004549B
	v_mfma_scale_f32_16x16x128_f8f6f4 a[52:55], v[88:91], v[60:63], a[52:55], v141, v139 op_sel_hi:[0,0,0] cbsz:4 blgp:4// 000000004A04: D3AC7000 0003178D D3AD8C34 84D27958
	ds_read_b128 v[24:27], v150 offset:4224                    // 000000004A14: D9FE1080 18000096
	v_mfma_scale_f32_16x16x128_f8f6f4 a[56:59], v[92:95], v[56:59], a[56:59], v141, v139 op_sel_hi:[0,0,0] cbsz:4 blgp:4// 000000004A1C: D3AC6800 0003178D D3AD8C38 84E2715C
	v_mfma_scale_f32_16x16x128_f8f6f4 a[60:63], v[92:95], v[60:63], a[60:63], v141, v139 op_sel_hi:[0,0,0] cbsz:4 blgp:4// 000000004A2C: D3AC7800 0003178D D3AD8C3C 84F2795C
	ds_read_b128 v[32:35], v150 offset:4288                    // 000000004A3C: D9FE10C0 20000096
	v_mfma_scale_f32_16x16x128_f8f6f4 a[48:51], v[96:99], v[64:67], a[48:51], v141, v139 op_sel_hi:[0,0,0] cbsz:4 blgp:4// 000000004A44: D3AC6000 1803178D D3AD8C30 84C28160
	buffer_load_dword v140, v156, s[24:27], 0 offen            // 000000004A54: E0501000 80068C9C
	v_mfma_scale_f32_16x16x128_f8f6f4 a[52:55], v[96:99], v[68:71], a[52:55], v141, v139 op_sel_hi:[0,0,0] cbsz:4 blgp:4// 000000004A5C: D3AC7000 1803178D D3AD8C34 84D28960
	s_add_u32 s16, s16, s67                                    // 000000004A6C: 80104310
	ds_read_b128 v[28:31], v150 offset:4736                    // 000000004A70: D9FE1280 1C000096
	v_mfma_scale_f32_16x16x128_f8f6f4 a[56:59], v[100:103], v[64:67], a[56:59], v141, v139 op_sel_hi:[0,0,0] cbsz:4 blgp:4// 000000004A78: D3AC6800 1803178D D3AD8C38 84E28164
	s_addc_u32 s17, 0, s17                                     // 000000004A88: 82111180
	s_sub_u32 s18, s18, s67                                    // 000000004A8C: 80924312
	v_mfma_scale_f32_16x16x128_f8f6f4 a[60:63], v[100:103], v[68:71], a[60:63], v141, v139 op_sel_hi:[0,0,0] cbsz:4 blgp:4// 000000004A90: D3AC7800 1803178D D3AD8C3C 84F28964
	s_add_u32 s24, s24, s69                                    // 000000004AA0: 80184518
	ds_read_b128 v[36:39], v150 offset:4800                    // 000000004AA4: D9FE12C0 24000096
	ds_read_b32 v137, v153 offset:2304                         // 000000004AAC: D86C0900 89000099
	s_addc_u32 s25, 0, s25                                     // 000000004AB4: 82191980
	s_sub_u32 s26, s26, s69                                    // 000000004AB8: 809A451A
	s_addk_i32 s60, 0x100                                      // 000000004ABC: B73C0100
	s_cmp_lt_i32 s60, s61                                      // 000000004AC0: BF043D3C
	s_cbranch_scc0 label_097D                                  // 000000004AC4: BF8401CB
	s_waitcnt vmcnt(20) lgkmcnt(5)                             // 000000004AC8: BF8C4574
	s_barrier                                                  // 000000004ACC: BF8A0000
	v_mfma_scale_f32_16x16x128_f8f6f4 a[0:3], v[104:107], v[8:11], a[0:3], v142, v136 op_sel_hi:[0,0,0] cbsz:4 blgp:4// 000000004AD0: D3AC6000 0003118E D3AD8C00 84021168
	s_add_u32 m0, 0x400, s65                                   // 000000004AE0: 807C41FF 00000400
	buffer_load_dword v152, s[20:23], 0 offen lds              // 000000004AE8: E0511000 80050098
	v_mfma_scale_f32_16x16x128_f8f6f4 a[4:7], v[104:107], v[12:15], a[4:7], v142, v136 op_sel_hi:[0,0,0] cbsz:4 blgp:4// 000000004AF0: D3AC7000 0003118E D3AD8C04 84121968
	ds_read_b128 v[40:43], v150 offset:8448                    // 000000004B00: D9FE2100 28000096
	v_mfma_scale_f32_16x16x128_f8f6f4 a[8:11], v[108:111], v[8:11], a[8:11], v142, v136 op_sel_hi:[0,0,0] cbsz:4 blgp:4// 000000004B08: D3AC6800 0003118E D3AD8C08 8422116C
	s_add_u32 m0, 0x4200, s64                                  // 000000004B18: 807C40FF 00004200
	buffer_load_dwordx4 v144, s[12:15], 0 offen lds            // 000000004B20: E05D1000 80030090
	v_mfma_scale_f32_16x16x128_f8f6f4 a[12:15], v[108:111], v[12:15], a[12:15], v142, v136 op_sel_hi:[0,0,0] cbsz:4 blgp:4// 000000004B28: D3AC7800 0003118E D3AD8C0C 8432196C
	ds_read_b128 v[48:51], v150 offset:8512                    // 000000004B38: D9FE2140 30000096
	v_mfma_scale_f32_16x16x128_f8f6f4 a[0:3], v[112:115], v[16:19], a[0:3], v142, v136 op_sel_hi:[0,0,0] cbsz:4 blgp:4// 000000004B40: D3AC6000 1803118E D3AD8C00 84022170
	s_add_u32 m0, 0x5280, s64                                  // 000000004B50: 807C40FF 00005280
	buffer_load_dwordx4 v145, s[12:15], 0 offen lds            // 000000004B58: E05D1000 80030091
	v_mfma_scale_f32_16x16x128_f8f6f4 a[4:7], v[112:115], v[20:23], a[4:7], v142, v136 op_sel_hi:[0,0,0] cbsz:4 blgp:4// 000000004B60: D3AC7000 1803118E D3AD8C04 84122970
	ds_read_b128 v[44:47], v150 offset:8960                    // 000000004B70: D9FE2300 2C000096
	v_mfma_scale_f32_16x16x128_f8f6f4 a[8:11], v[116:119], v[16:19], a[8:11], v142, v136 op_sel_hi:[0,0,0] cbsz:4 blgp:4// 000000004B78: D3AC6800 1803118E D3AD8C08 84222174
	s_add_u32 m0, 0x6300, s64                                  // 000000004B88: 807C40FF 00006300
	buffer_load_dwordx4 v146, s[12:15], 0 offen lds            // 000000004B90: E05D1000 80030092
	v_mfma_scale_f32_16x16x128_f8f6f4 a[12:15], v[116:119], v[20:23], a[12:15], v142, v136 op_sel_hi:[0,0,0] cbsz:4 blgp:4// 000000004B98: D3AC7800 1803118E D3AD8C0C 84322974
	ds_read_b128 v[52:55], v150 offset:9024                    // 000000004BA8: D9FE2340 34000096
	ds_read_b32 v138, v153 offset:2560                         // 000000004BB0: D86C0A00 8A000099
	s_waitcnt lgkmcnt(5)                                       // 000000004BB8: BF8CC57F
	v_mfma_scale_f32_16x16x128_f8f6f4 a[16:19], v[104:107], v[24:27], a[16:19], v142, v137 op_sel_hi:[0,0,0] cbsz:4 blgp:4// 000000004BBC: D3AC6000 0003138E D3AD8C10 84423168
	s_add_u32 m0, 0x7380, s64                                  // 000000004BCC: 807C40FF 00007380
	buffer_load_dwordx4 v147, s[12:15], 0 offen lds            // 000000004BD4: E05D1000 80030093
	v_mfma_scale_f32_16x16x128_f8f6f4 a[20:23], v[104:107], v[28:31], a[20:23], v142, v137 op_sel_hi:[0,0,0] cbsz:4 blgp:4// 000000004BDC: D3AC7000 0003138E D3AD8C14 84523968
	s_add_u32 s62, 0x400, s60                                  // 000000004BEC: 803E3CFF 00000400
	ds_read_b128 v[56:59], v150 offset:12672                   // 000000004BF4: D9FE3180 38000096
	v_mfma_scale_f32_16x16x128_f8f6f4 a[24:27], v[108:111], v[24:27], a[24:27], v142, v137 op_sel_hi:[0,0,0] cbsz:4 blgp:4// 000000004BFC: D3AC6800 0003138E D3AD8C18 8462316C
	s_cmp_lt_u32 s62, s61                                      // 000000004C0C: BF0A3D3E
	s_cselect_b32 s66, s66, 0                                  // 000000004C10: 85428042
	v_mfma_scale_f32_16x16x128_f8f6f4 a[28:31], v[108:111], v[28:31], a[28:31], v142, v137 op_sel_hi:[0,0,0] cbsz:4 blgp:4// 000000004C14: D3AC7800 0003138E D3AD8C1C 8472396C
	s_cselect_b32 s68, s68, 0                                  // 000000004C24: 85448044
	ds_read_b128 v[64:67], v150 offset:12736                   // 000000004C28: D9FE31C0 40000096
	v_mfma_scale_f32_16x16x128_f8f6f4 a[16:19], v[112:115], v[32:35], a[16:19], v142, v137 op_sel_hi:[0,0,0] cbsz:4 blgp:4// 000000004C30: D3AC6000 1803138E D3AD8C10 84424170
	s_add_u32 s12, s12, s66                                    // 000000004C40: 800C420C
	buffer_load_dwordx4 v[88:91], v154, s[16:19], 0 offen      // 000000004C44: E05C1000 8004589A
	v_mfma_scale_f32_16x16x128_f8f6f4 a[20:23], v[112:115], v[36:39], a[20:23], v142, v137 op_sel_hi:[0,0,0] cbsz:4 blgp:4// 000000004C4C: D3AC7000 1803138E D3AD8C14 84524970
	s_addc_u32 s13, 0, s13                                     // 000000004C5C: 820D0D80
	ds_read_b128 v[60:63], v150 offset:13184                   // 000000004C60: D9FE3380 3C000096
	v_mfma_scale_f32_16x16x128_f8f6f4 a[24:27], v[116:119], v[32:35], a[24:27], v142, v137 op_sel_hi:[0,0,0] cbsz:4 blgp:4// 000000004C68: D3AC6800 1803138E D3AD8C18 84624174
	s_sub_u32 s14, s14, s66                                    // 000000004C78: 808E420E
	s_add_u32 s20, s20, s68                                    // 000000004C7C: 80144414
	v_mfma_scale_f32_16x16x128_f8f6f4 a[28:31], v[116:119], v[36:39], a[28:31], v142, v137 op_sel_hi:[0,0,0] cbsz:4 blgp:4// 000000004C80: D3AC7800 1803138E D3AD8C1C 84724974
	s_addc_u32 s21, 0, s21                                     // 000000004C90: 82151580
	ds_read_b128 v[68:71], v150 offset:13248                   // 000000004C94: D9FE33C0 44000096
	ds_read_b32 v139, v153 offset:2816                         // 000000004C9C: D86C0B00 8B000099
	s_waitcnt vmcnt(23) lgkmcnt(5)                             // 000000004CA4: BF8C4577
	s_barrier                                                  // 000000004CA8: BF8A0000
	v_mfma_scale_f32_16x16x128_f8f6f4 a[32:35], v[104:107], v[40:43], a[32:35], v142, v138 op_sel_hi:[0,0,0] cbsz:4 blgp:4// 000000004CAC: D3AC6000 0003158E D3AD8C20 84825168
	s_sub_u32 s22, s22, s68                                    // 000000004CBC: 80964416
	buffer_load_dwordx4 v[92:95], v155, s[16:19], 0 offen      // 000000004CC0: E05C1000 80045C9B
	v_mfma_scale_f32_16x16x128_f8f6f4 a[36:39], v[104:107], v[44:47], a[36:39], v142, v138 op_sel_hi:[0,0,0] cbsz:4 blgp:4// 000000004CC8: D3AC7000 0003158E D3AD8C24 84925968
	s_add_u32 s63, 0x400, s60                                  // 000000004CD8: 803F3CFF 00000400
	ds_read_b128 v[8:11], v151                                 // 000000004CE0: D9FE0000 08000097
	v_mfma_scale_f32_16x16x128_f8f6f4 a[40:43], v[108:111], v[40:43], a[40:43], v142, v138 op_sel_hi:[0,0,0] cbsz:4 blgp:4// 000000004CE8: D3AC6800 0003158E D3AD8C28 84A2516C
	s_cmp_lt_u32 s63, s61                                      // 000000004CF8: BF0A3D3F
	s_cselect_b32 s67, s67, 0                                  // 000000004CFC: 85438043
	v_mfma_scale_f32_16x16x128_f8f6f4 a[44:47], v[108:111], v[44:47], a[44:47], v142, v138 op_sel_hi:[0,0,0] cbsz:4 blgp:4// 000000004D00: D3AC7800 0003158E D3AD8C2C 84B2596C
	s_cselect_b32 s69, s69, 0                                  // 000000004D10: 85458045
	ds_read_b128 v[16:19], v151 offset:64                      // 000000004D14: D9FE0040 10000097
	v_mfma_scale_f32_16x16x128_f8f6f4 a[32:35], v[112:115], v[48:51], a[32:35], v142, v138 op_sel_hi:[0,0,0] cbsz:4 blgp:4// 000000004D1C: D3AC6000 1803158E D3AD8C20 84826170
	buffer_load_dwordx4 v[96:99], v154, s[16:19], 0 offen offset:1024// 000000004D2C: E05C1400 8004609A
	v_mfma_scale_f32_16x16x128_f8f6f4 a[36:39], v[112:115], v[52:55], a[36:39], v142, v138 op_sel_hi:[0,0,0] cbsz:4 blgp:4// 000000004D34: D3AC7000 1803158E D3AD8C24 84926970
	ds_read_b128 v[12:15], v151 offset:512                     // 000000004D44: D9FE0200 0C000097
	v_mfma_scale_f32_16x16x128_f8f6f4 a[40:43], v[116:119], v[48:51], a[40:43], v142, v138 op_sel_hi:[0,0,0] cbsz:4 blgp:4// 000000004D4C: D3AC6800 1803158E D3AD8C28 84A26174
	v_mfma_scale_f32_16x16x128_f8f6f4 a[44:47], v[116:119], v[52:55], a[44:47], v142, v138 op_sel_hi:[0,0,0] cbsz:4 blgp:4// 000000004D5C: D3AC7800 1803158E D3AD8C2C 84B26974
	ds_read_b128 v[20:23], v151 offset:576                     // 000000004D6C: D9FE0240 14000097
	ds_read_b32 v136, v153 offset:3072                         // 000000004D74: D86C0C00 88000099
	s_waitcnt lgkmcnt(5)                                       // 000000004D7C: BF8CC57F
	v_mfma_scale_f32_16x16x128_f8f6f4 a[48:51], v[104:107], v[56:59], a[48:51], v142, v139 op_sel_hi:[0,0,0] cbsz:4 blgp:4// 000000004D80: D3AC6000 0003178E D3AD8C30 84C27168
	buffer_load_dwordx4 v[100:103], v155, s[16:19], 0 offen offset:1024// 000000004D90: E05C1400 8004649B
	v_mfma_scale_f32_16x16x128_f8f6f4 a[52:55], v[104:107], v[60:63], a[52:55], v142, v139 op_sel_hi:[0,0,0] cbsz:4 blgp:4// 000000004D98: D3AC7000 0003178E D3AD8C34 84D27968
	ds_read_b128 v[24:27], v151 offset:4224                    // 000000004DA8: D9FE1080 18000097
	v_mfma_scale_f32_16x16x128_f8f6f4 a[56:59], v[108:111], v[56:59], a[56:59], v142, v139 op_sel_hi:[0,0,0] cbsz:4 blgp:4// 000000004DB0: D3AC6800 0003178E D3AD8C38 84E2716C
	v_mfma_scale_f32_16x16x128_f8f6f4 a[60:63], v[108:111], v[60:63], a[60:63], v142, v139 op_sel_hi:[0,0,0] cbsz:4 blgp:4// 000000004DC0: D3AC7800 0003178E D3AD8C3C 84F2796C
	ds_read_b128 v[32:35], v151 offset:4288                    // 000000004DD0: D9FE10C0 20000097
	v_mfma_scale_f32_16x16x128_f8f6f4 a[48:51], v[112:115], v[64:67], a[48:51], v142, v139 op_sel_hi:[0,0,0] cbsz:4 blgp:4// 000000004DD8: D3AC6000 1803178E D3AD8C30 84C28170
	buffer_load_dword v141, v156, s[24:27], 0 offen            // 000000004DE8: E0501000 80068D9C
	v_mfma_scale_f32_16x16x128_f8f6f4 a[52:55], v[112:115], v[68:71], a[52:55], v142, v139 op_sel_hi:[0,0,0] cbsz:4 blgp:4// 000000004DF0: D3AC7000 1803178E D3AD8C34 84D28970
	s_add_u32 s16, s16, s67                                    // 000000004E00: 80104310
	ds_read_b128 v[28:31], v151 offset:4736                    // 000000004E04: D9FE1280 1C000097
	v_mfma_scale_f32_16x16x128_f8f6f4 a[56:59], v[116:119], v[64:67], a[56:59], v142, v139 op_sel_hi:[0,0,0] cbsz:4 blgp:4// 000000004E0C: D3AC6800 1803178E D3AD8C38 84E28174
	s_addc_u32 s17, 0, s17                                     // 000000004E1C: 82111180
	s_sub_u32 s18, s18, s67                                    // 000000004E20: 80924312
	v_mfma_scale_f32_16x16x128_f8f6f4 a[60:63], v[116:119], v[68:71], a[60:63], v142, v139 op_sel_hi:[0,0,0] cbsz:4 blgp:4// 000000004E24: D3AC7800 1803178E D3AD8C3C 84F28974
	s_add_u32 s24, s24, s69                                    // 000000004E34: 80184518
	ds_read_b128 v[36:39], v151 offset:4800                    // 000000004E38: D9FE12C0 24000097
	ds_read_b32 v137, v153 offset:3328                         // 000000004E40: D86C0D00 89000099
	s_addc_u32 s25, 0, s25                                     // 000000004E48: 82191980
	s_sub_u32 s26, s26, s69                                    // 000000004E4C: 809A451A
	s_addk_i32 s60, 0x100                                      // 000000004E50: B73C0100
	s_cmp_lt_i32 s60, s61                                      // 000000004E54: BF043D3C
	s_cbranch_scc0 label_097D                                  // 000000004E58: BF8400E6
	s_waitcnt vmcnt(20) lgkmcnt(5)                             // 000000004E5C: BF8C4574
	s_barrier                                                  // 000000004E60: BF8A0000
	v_mfma_scale_f32_16x16x128_f8f6f4 a[0:3], v[120:123], v[8:11], a[0:3], v143, v136 op_sel_hi:[0,0,0] cbsz:4 blgp:4// 000000004E64: D3AC6000 0003118F D3AD8C00 84021178
	s_add_u32 m0, 0x800, s65                                   // 000000004E74: 807C41FF 00000800
	buffer_load_dword v152, s[20:23], 0 offen lds              // 000000004E7C: E0511000 80050098
	v_mfma_scale_f32_16x16x128_f8f6f4 a[4:7], v[120:123], v[12:15], a[4:7], v143, v136 op_sel_hi:[0,0,0] cbsz:4 blgp:4// 000000004E84: D3AC7000 0003118F D3AD8C04 84121978
	ds_read_b128 v[40:43], v151 offset:8448                    // 000000004E94: D9FE2100 28000097
	v_mfma_scale_f32_16x16x128_f8f6f4 a[8:11], v[124:127], v[8:11], a[8:11], v143, v136 op_sel_hi:[0,0,0] cbsz:4 blgp:4// 000000004E9C: D3AC6800 0003118F D3AD8C08 8422117C
	s_add_u32 m0, 0x8400, s64                                  // 000000004EAC: 807C40FF 00008400
	buffer_load_dwordx4 v144, s[12:15], 0 offen lds            // 000000004EB4: E05D1000 80030090
	v_mfma_scale_f32_16x16x128_f8f6f4 a[12:15], v[124:127], v[12:15], a[12:15], v143, v136 op_sel_hi:[0,0,0] cbsz:4 blgp:4// 000000004EBC: D3AC7800 0003118F D3AD8C0C 8432197C
	ds_read_b128 v[48:51], v151 offset:8512                    // 000000004ECC: D9FE2140 30000097
	v_mfma_scale_f32_16x16x128_f8f6f4 a[0:3], v[128:131], v[16:19], a[0:3], v143, v136 op_sel_hi:[0,0,0] cbsz:4 blgp:4// 000000004ED4: D3AC6000 1803118F D3AD8C00 84022180
	s_add_u32 m0, 0x9480, s64                                  // 000000004EE4: 807C40FF 00009480
	buffer_load_dwordx4 v145, s[12:15], 0 offen lds            // 000000004EEC: E05D1000 80030091
	v_mfma_scale_f32_16x16x128_f8f6f4 a[4:7], v[128:131], v[20:23], a[4:7], v143, v136 op_sel_hi:[0,0,0] cbsz:4 blgp:4// 000000004EF4: D3AC7000 1803118F D3AD8C04 84122980
	ds_read_b128 v[44:47], v151 offset:8960                    // 000000004F04: D9FE2300 2C000097
	v_mfma_scale_f32_16x16x128_f8f6f4 a[8:11], v[132:135], v[16:19], a[8:11], v143, v136 op_sel_hi:[0,0,0] cbsz:4 blgp:4// 000000004F0C: D3AC6800 1803118F D3AD8C08 84222184
	s_add_u32 m0, 0xa500, s64                                  // 000000004F1C: 807C40FF 0000A500
	buffer_load_dwordx4 v146, s[12:15], 0 offen lds            // 000000004F24: E05D1000 80030092
	v_mfma_scale_f32_16x16x128_f8f6f4 a[12:15], v[132:135], v[20:23], a[12:15], v143, v136 op_sel_hi:[0,0,0] cbsz:4 blgp:4// 000000004F2C: D3AC7800 1803118F D3AD8C0C 84322984
	ds_read_b128 v[52:55], v151 offset:9024                    // 000000004F3C: D9FE2340 34000097
	ds_read_b32 v138, v153 offset:3584                         // 000000004F44: D86C0E00 8A000099
	s_waitcnt lgkmcnt(5)                                       // 000000004F4C: BF8CC57F
	v_mfma_scale_f32_16x16x128_f8f6f4 a[16:19], v[120:123], v[24:27], a[16:19], v143, v137 op_sel_hi:[0,0,0] cbsz:4 blgp:4// 000000004F50: D3AC6000 0003138F D3AD8C10 84423178
	s_add_u32 m0, 0xb580, s64                                  // 000000004F60: 807C40FF 0000B580
	buffer_load_dwordx4 v147, s[12:15], 0 offen lds            // 000000004F68: E05D1000 80030093
	v_mfma_scale_f32_16x16x128_f8f6f4 a[20:23], v[120:123], v[28:31], a[20:23], v143, v137 op_sel_hi:[0,0,0] cbsz:4 blgp:4// 000000004F70: D3AC7000 0003138F D3AD8C14 84523978
	s_add_u32 s62, 0x400, s60                                  // 000000004F80: 803E3CFF 00000400
	ds_read_b128 v[56:59], v151 offset:12672                   // 000000004F88: D9FE3180 38000097
	v_mfma_scale_f32_16x16x128_f8f6f4 a[24:27], v[124:127], v[24:27], a[24:27], v143, v137 op_sel_hi:[0,0,0] cbsz:4 blgp:4// 000000004F90: D3AC6800 0003138F D3AD8C18 8462317C
	s_cmp_lt_u32 s62, s61                                      // 000000004FA0: BF0A3D3E
	s_cselect_b32 s66, s66, 0                                  // 000000004FA4: 85428042
	v_mfma_scale_f32_16x16x128_f8f6f4 a[28:31], v[124:127], v[28:31], a[28:31], v143, v137 op_sel_hi:[0,0,0] cbsz:4 blgp:4// 000000004FA8: D3AC7800 0003138F D3AD8C1C 8472397C
	s_cselect_b32 s68, s68, 0                                  // 000000004FB8: 85448044
	ds_read_b128 v[64:67], v151 offset:12736                   // 000000004FBC: D9FE31C0 40000097
	v_mfma_scale_f32_16x16x128_f8f6f4 a[16:19], v[128:131], v[32:35], a[16:19], v143, v137 op_sel_hi:[0,0,0] cbsz:4 blgp:4// 000000004FC4: D3AC6000 1803138F D3AD8C10 84424180
	s_add_u32 s12, s12, s66                                    // 000000004FD4: 800C420C
	buffer_load_dwordx4 v[104:107], v154, s[16:19], 0 offen    // 000000004FD8: E05C1000 8004689A
	v_mfma_scale_f32_16x16x128_f8f6f4 a[20:23], v[128:131], v[36:39], a[20:23], v143, v137 op_sel_hi:[0,0,0] cbsz:4 blgp:4// 000000004FE0: D3AC7000 1803138F D3AD8C14 84524980
	s_addc_u32 s13, 0, s13                                     // 000000004FF0: 820D0D80
	ds_read_b128 v[60:63], v151 offset:13184                   // 000000004FF4: D9FE3380 3C000097
	v_mfma_scale_f32_16x16x128_f8f6f4 a[24:27], v[132:135], v[32:35], a[24:27], v143, v137 op_sel_hi:[0,0,0] cbsz:4 blgp:4// 000000004FFC: D3AC6800 1803138F D3AD8C18 84624184
	s_sub_u32 s14, s14, s66                                    // 00000000500C: 808E420E
	s_add_u32 s20, s20, s68                                    // 000000005010: 80144414
	v_mfma_scale_f32_16x16x128_f8f6f4 a[28:31], v[132:135], v[36:39], a[28:31], v143, v137 op_sel_hi:[0,0,0] cbsz:4 blgp:4// 000000005014: D3AC7800 1803138F D3AD8C1C 84724984
	s_addc_u32 s21, 0, s21                                     // 000000005024: 82151580
	ds_read_b128 v[68:71], v151 offset:13248                   // 000000005028: D9FE33C0 44000097
	ds_read_b32 v139, v153 offset:3840                         // 000000005030: D86C0F00 8B000099
	s_waitcnt vmcnt(23) lgkmcnt(5)                             // 000000005038: BF8C4577
	s_barrier                                                  // 00000000503C: BF8A0000
	v_mfma_scale_f32_16x16x128_f8f6f4 a[32:35], v[120:123], v[40:43], a[32:35], v143, v138 op_sel_hi:[0,0,0] cbsz:4 blgp:4// 000000005040: D3AC6000 0003158F D3AD8C20 84825178
	s_sub_u32 s22, s22, s68                                    // 000000005050: 80964416
	buffer_load_dwordx4 v[108:111], v155, s[16:19], 0 offen    // 000000005054: E05C1000 80046C9B
	v_mfma_scale_f32_16x16x128_f8f6f4 a[36:39], v[120:123], v[44:47], a[36:39], v143, v138 op_sel_hi:[0,0,0] cbsz:4 blgp:4// 00000000505C: D3AC7000 0003158F D3AD8C24 84925978
	s_add_u32 s63, 0x400, s60                                  // 00000000506C: 803F3CFF 00000400
	ds_read_b128 v[8:11], v148                                 // 000000005074: D9FE0000 08000094
	v_mfma_scale_f32_16x16x128_f8f6f4 a[40:43], v[124:127], v[40:43], a[40:43], v143, v138 op_sel_hi:[0,0,0] cbsz:4 blgp:4// 00000000507C: D3AC6800 0003158F D3AD8C28 84A2517C
	s_cmp_lt_u32 s63, s61                                      // 00000000508C: BF0A3D3F
	s_cselect_b32 s67, s67, 0                                  // 000000005090: 85438043
	v_mfma_scale_f32_16x16x128_f8f6f4 a[44:47], v[124:127], v[44:47], a[44:47], v143, v138 op_sel_hi:[0,0,0] cbsz:4 blgp:4// 000000005094: D3AC7800 0003158F D3AD8C2C 84B2597C
	s_cselect_b32 s69, s69, 0                                  // 0000000050A4: 85458045
	ds_read_b128 v[16:19], v148 offset:64                      // 0000000050A8: D9FE0040 10000094
	v_mfma_scale_f32_16x16x128_f8f6f4 a[32:35], v[128:131], v[48:51], a[32:35], v143, v138 op_sel_hi:[0,0,0] cbsz:4 blgp:4// 0000000050B0: D3AC6000 1803158F D3AD8C20 84826180
	buffer_load_dwordx4 v[112:115], v154, s[16:19], 0 offen offset:1024// 0000000050C0: E05C1400 8004709A
	v_mfma_scale_f32_16x16x128_f8f6f4 a[36:39], v[128:131], v[52:55], a[36:39], v143, v138 op_sel_hi:[0,0,0] cbsz:4 blgp:4// 0000000050C8: D3AC7000 1803158F D3AD8C24 84926980
	ds_read_b128 v[12:15], v148 offset:512                     // 0000000050D8: D9FE0200 0C000094
	v_mfma_scale_f32_16x16x128_f8f6f4 a[40:43], v[132:135], v[48:51], a[40:43], v143, v138 op_sel_hi:[0,0,0] cbsz:4 blgp:4// 0000000050E0: D3AC6800 1803158F D3AD8C28 84A26184
	v_mfma_scale_f32_16x16x128_f8f6f4 a[44:47], v[132:135], v[52:55], a[44:47], v143, v138 op_sel_hi:[0,0,0] cbsz:4 blgp:4// 0000000050F0: D3AC7800 1803158F D3AD8C2C 84B26984
	ds_read_b128 v[20:23], v148 offset:576                     // 000000005100: D9FE0240 14000094
	ds_read_b32 v136, v153                                     // 000000005108: D86C0000 88000099
	s_waitcnt lgkmcnt(5)                                       // 000000005110: BF8CC57F
	v_mfma_scale_f32_16x16x128_f8f6f4 a[48:51], v[120:123], v[56:59], a[48:51], v143, v139 op_sel_hi:[0,0,0] cbsz:4 blgp:4// 000000005114: D3AC6000 0003178F D3AD8C30 84C27178
	buffer_load_dwordx4 v[116:119], v155, s[16:19], 0 offen offset:1024// 000000005124: E05C1400 8004749B
	v_mfma_scale_f32_16x16x128_f8f6f4 a[52:55], v[120:123], v[60:63], a[52:55], v143, v139 op_sel_hi:[0,0,0] cbsz:4 blgp:4// 00000000512C: D3AC7000 0003178F D3AD8C34 84D27978
	ds_read_b128 v[24:27], v148 offset:4224                    // 00000000513C: D9FE1080 18000094
	v_mfma_scale_f32_16x16x128_f8f6f4 a[56:59], v[124:127], v[56:59], a[56:59], v143, v139 op_sel_hi:[0,0,0] cbsz:4 blgp:4// 000000005144: D3AC6800 0003178F D3AD8C38 84E2717C
	v_mfma_scale_f32_16x16x128_f8f6f4 a[60:63], v[124:127], v[60:63], a[60:63], v143, v139 op_sel_hi:[0,0,0] cbsz:4 blgp:4// 000000005154: D3AC7800 0003178F D3AD8C3C 84F2797C
	ds_read_b128 v[32:35], v148 offset:4288                    // 000000005164: D9FE10C0 20000094
	v_mfma_scale_f32_16x16x128_f8f6f4 a[48:51], v[128:131], v[64:67], a[48:51], v143, v139 op_sel_hi:[0,0,0] cbsz:4 blgp:4// 00000000516C: D3AC6000 1803178F D3AD8C30 84C28180
	buffer_load_dword v142, v156, s[24:27], 0 offen            // 00000000517C: E0501000 80068E9C
	v_mfma_scale_f32_16x16x128_f8f6f4 a[52:55], v[128:131], v[68:71], a[52:55], v143, v139 op_sel_hi:[0,0,0] cbsz:4 blgp:4// 000000005184: D3AC7000 1803178F D3AD8C34 84D28980
	s_add_u32 s16, s16, s67                                    // 000000005194: 80104310
	ds_read_b128 v[28:31], v148 offset:4736                    // 000000005198: D9FE1280 1C000094
	v_mfma_scale_f32_16x16x128_f8f6f4 a[56:59], v[132:135], v[64:67], a[56:59], v143, v139 op_sel_hi:[0,0,0] cbsz:4 blgp:4// 0000000051A0: D3AC6800 1803178F D3AD8C38 84E28184
	s_addc_u32 s17, 0, s17                                     // 0000000051B0: 82111180
	s_sub_u32 s18, s18, s67                                    // 0000000051B4: 80924312
	v_mfma_scale_f32_16x16x128_f8f6f4 a[60:63], v[132:135], v[68:71], a[60:63], v143, v139 op_sel_hi:[0,0,0] cbsz:4 blgp:4// 0000000051B8: D3AC7800 1803178F D3AD8C3C 84F28984
	s_add_u32 s24, s24, s69                                    // 0000000051C8: 80184518
	ds_read_b128 v[36:39], v148 offset:4800                    // 0000000051CC: D9FE12C0 24000094
	ds_read_b32 v137, v153 offset:256                          // 0000000051D4: D86C0100 89000099
	s_addc_u32 s25, 0, s25                                     // 0000000051DC: 82191980
	s_sub_u32 s26, s26, s69                                    // 0000000051E0: 809A451A
	s_addk_i32 s60, 0x100                                      // 0000000051E4: B73C0100
	s_cmp_lt_i32 s60, s61                                      // 0000000051E8: BF043D3C
	s_cbranch_scc0 label_097D                                  // 0000000051EC: BF840001
	s_branch label_05EA                                        // 0000000051F0: BF82FC6D

00000000000051f4 <label_097D>:
	s_waitcnt lgkmcnt(0)                                       // 0000000051F4: BF8CC07F
	s_mul_i32 s62, s47, 0x80                                   // 0000000051F8: 923EFF2F 00000080
	s_mul_i32 s63, s46, 32                                     // 000000005200: 923FA02E
	s_add_u32 s60, s62, s63                                    // 000000005204: 803C3F3E
	s_add_u32 s62, s60, 32                                     // 000000005208: 803EA03C
	s_cmp_lt_i32 s44, s62                                      // 00000000520C: BF043E2C
	s_cbranch_scc1 label_0A88                                  // 000000005210: BF850103
	s_mul_i32 s62, s36, 16                                     // 000000005214: 923E9024
	v_add_u32_e32 v161, 0, v157                                // 000000005218: 69433A80
	v_accvgpr_read_b32 v8, a0                                  // 00000000521C: D3D84008 18000100
	v_accvgpr_read_b32 v9, a1                                  // 000000005224: D3D84009 18000101
	v_accvgpr_read_b32 v10, a2                                 // 00000000522C: D3D8400A 18000102
	v_accvgpr_read_b32 v11, a3                                 // 000000005234: D3D8400B 18000103
	v_accvgpr_read_b32 v12, a8                                 // 00000000523C: D3D8400C 18000108
	v_accvgpr_read_b32 v13, a9                                 // 000000005244: D3D8400D 18000109
	v_accvgpr_read_b32 v14, a10                                // 00000000524C: D3D8400E 1800010A
	v_accvgpr_read_b32 v15, a11                                // 000000005254: D3D8400F 1800010B
	v_cvt_pk_bf16_f32 v16, v8, v9                              // 00000000525C: D2680010 00021308
	v_cvt_pk_bf16_f32 v17, v10, v11                            // 000000005264: D2680011 0002170A
	v_cvt_pk_bf16_f32 v18, v12, v13                            // 00000000526C: D2680012 00021B0C
	v_cvt_pk_bf16_f32 v19, v14, v15                            // 000000005274: D2680013 00021F0E
	s_nop 1                                                    // 00000000527C: BF800001
	v_permlane16_swap_b32_e32 v16, v18                         // 000000005280: 7E20B312
	s_nop 1                                                    // 000000005284: BF800001
	v_permlane16_swap_b32_e32 v17, v19                         // 000000005288: 7E22B313
	s_nop 1                                                    // 00000000528C: BF800001
	buffer_store_dwordx4 v[16:19], v161, s[4:7], 0 offen       // 000000005290: E07C1000 800110A1
	v_add_u32_e32 v161, s62, v161                              // 000000005298: 6943423E
	v_accvgpr_read_b32 v8, a4                                  // 00000000529C: D3D84008 18000104
	v_accvgpr_read_b32 v9, a5                                  // 0000000052A4: D3D84009 18000105
	v_accvgpr_read_b32 v10, a6                                 // 0000000052AC: D3D8400A 18000106
	v_accvgpr_read_b32 v11, a7                                 // 0000000052B4: D3D8400B 18000107
	v_accvgpr_read_b32 v12, a12                                // 0000000052BC: D3D8400C 1800010C
	v_accvgpr_read_b32 v13, a13                                // 0000000052C4: D3D8400D 1800010D
	v_accvgpr_read_b32 v14, a14                                // 0000000052CC: D3D8400E 1800010E
	v_accvgpr_read_b32 v15, a15                                // 0000000052D4: D3D8400F 1800010F
	v_cvt_pk_bf16_f32 v16, v8, v9                              // 0000000052DC: D2680010 00021308
	v_cvt_pk_bf16_f32 v17, v10, v11                            // 0000000052E4: D2680011 0002170A
	v_cvt_pk_bf16_f32 v18, v12, v13                            // 0000000052EC: D2680012 00021B0C
	v_cvt_pk_bf16_f32 v19, v14, v15                            // 0000000052F4: D2680013 00021F0E
	s_nop 1                                                    // 0000000052FC: BF800001
	v_permlane16_swap_b32_e32 v16, v18                         // 000000005300: 7E20B312
	s_nop 1                                                    // 000000005304: BF800001
	v_permlane16_swap_b32_e32 v17, v19                         // 000000005308: 7E22B313
	s_nop 1                                                    // 00000000530C: BF800001
	buffer_store_dwordx4 v[16:19], v161, s[4:7], 0 offen       // 000000005310: E07C1000 800110A1
	v_add_u32_e32 v161, s62, v161                              // 000000005318: 6943423E
	v_accvgpr_read_b32 v8, a16                                 // 00000000531C: D3D84008 18000110
	v_accvgpr_read_b32 v9, a17                                 // 000000005324: D3D84009 18000111
	v_accvgpr_read_b32 v10, a18                                // 00000000532C: D3D8400A 18000112
	v_accvgpr_read_b32 v11, a19                                // 000000005334: D3D8400B 18000113
	v_accvgpr_read_b32 v12, a24                                // 00000000533C: D3D8400C 18000118
	v_accvgpr_read_b32 v13, a25                                // 000000005344: D3D8400D 18000119
	v_accvgpr_read_b32 v14, a26                                // 00000000534C: D3D8400E 1800011A
	v_accvgpr_read_b32 v15, a27                                // 000000005354: D3D8400F 1800011B
	v_cvt_pk_bf16_f32 v16, v8, v9                              // 00000000535C: D2680010 00021308
	v_cvt_pk_bf16_f32 v17, v10, v11                            // 000000005364: D2680011 0002170A
	v_cvt_pk_bf16_f32 v18, v12, v13                            // 00000000536C: D2680012 00021B0C
	v_cvt_pk_bf16_f32 v19, v14, v15                            // 000000005374: D2680013 00021F0E
	s_nop 1                                                    // 00000000537C: BF800001
	v_permlane16_swap_b32_e32 v16, v18                         // 000000005380: 7E20B312
	s_nop 1                                                    // 000000005384: BF800001
	v_permlane16_swap_b32_e32 v17, v19                         // 000000005388: 7E22B313
	s_nop 1                                                    // 00000000538C: BF800001
	buffer_store_dwordx4 v[16:19], v161, s[4:7], 0 offen       // 000000005390: E07C1000 800110A1
	v_add_u32_e32 v161, s62, v161                              // 000000005398: 6943423E
	v_accvgpr_read_b32 v8, a20                                 // 00000000539C: D3D84008 18000114
	v_accvgpr_read_b32 v9, a21                                 // 0000000053A4: D3D84009 18000115
	v_accvgpr_read_b32 v10, a22                                // 0000000053AC: D3D8400A 18000116
	v_accvgpr_read_b32 v11, a23                                // 0000000053B4: D3D8400B 18000117
	v_accvgpr_read_b32 v12, a28                                // 0000000053BC: D3D8400C 1800011C
	v_accvgpr_read_b32 v13, a29                                // 0000000053C4: D3D8400D 1800011D
	v_accvgpr_read_b32 v14, a30                                // 0000000053CC: D3D8400E 1800011E
	v_accvgpr_read_b32 v15, a31                                // 0000000053D4: D3D8400F 1800011F
	v_cvt_pk_bf16_f32 v16, v8, v9                              // 0000000053DC: D2680010 00021308
	v_cvt_pk_bf16_f32 v17, v10, v11                            // 0000000053E4: D2680011 0002170A
	v_cvt_pk_bf16_f32 v18, v12, v13                            // 0000000053EC: D2680012 00021B0C
	v_cvt_pk_bf16_f32 v19, v14, v15                            // 0000000053F4: D2680013 00021F0E
	s_nop 1                                                    // 0000000053FC: BF800001
	v_permlane16_swap_b32_e32 v16, v18                         // 000000005400: 7E20B312
	s_nop 1                                                    // 000000005404: BF800001
	v_permlane16_swap_b32_e32 v17, v19                         // 000000005408: 7E22B313
	s_nop 1                                                    // 00000000540C: BF800001
	buffer_store_dwordx4 v[16:19], v161, s[4:7], 0 offen       // 000000005410: E07C1000 800110A1
	v_add_u32_e32 v161, s62, v161                              // 000000005418: 6943423E
	v_accvgpr_read_b32 v8, a32                                 // 00000000541C: D3D84008 18000120
	v_accvgpr_read_b32 v9, a33                                 // 000000005424: D3D84009 18000121
	v_accvgpr_read_b32 v10, a34                                // 00000000542C: D3D8400A 18000122
	v_accvgpr_read_b32 v11, a35                                // 000000005434: D3D8400B 18000123
	v_accvgpr_read_b32 v12, a40                                // 00000000543C: D3D8400C 18000128
	v_accvgpr_read_b32 v13, a41                                // 000000005444: D3D8400D 18000129
	v_accvgpr_read_b32 v14, a42                                // 00000000544C: D3D8400E 1800012A
	v_accvgpr_read_b32 v15, a43                                // 000000005454: D3D8400F 1800012B
	v_cvt_pk_bf16_f32 v16, v8, v9                              // 00000000545C: D2680010 00021308
	v_cvt_pk_bf16_f32 v17, v10, v11                            // 000000005464: D2680011 0002170A
	v_cvt_pk_bf16_f32 v18, v12, v13                            // 00000000546C: D2680012 00021B0C
	v_cvt_pk_bf16_f32 v19, v14, v15                            // 000000005474: D2680013 00021F0E
	s_nop 1                                                    // 00000000547C: BF800001
	v_permlane16_swap_b32_e32 v16, v18                         // 000000005480: 7E20B312
	s_nop 1                                                    // 000000005484: BF800001
	v_permlane16_swap_b32_e32 v17, v19                         // 000000005488: 7E22B313
	s_nop 1                                                    // 00000000548C: BF800001
	buffer_store_dwordx4 v[16:19], v161, s[4:7], 0 offen       // 000000005490: E07C1000 800110A1
	v_add_u32_e32 v161, s62, v161                              // 000000005498: 6943423E
	v_accvgpr_read_b32 v8, a36                                 // 00000000549C: D3D84008 18000124
	v_accvgpr_read_b32 v9, a37                                 // 0000000054A4: D3D84009 18000125
	v_accvgpr_read_b32 v10, a38                                // 0000000054AC: D3D8400A 18000126
	v_accvgpr_read_b32 v11, a39                                // 0000000054B4: D3D8400B 18000127
	v_accvgpr_read_b32 v12, a44                                // 0000000054BC: D3D8400C 1800012C
	v_accvgpr_read_b32 v13, a45                                // 0000000054C4: D3D8400D 1800012D
	v_accvgpr_read_b32 v14, a46                                // 0000000054CC: D3D8400E 1800012E
	v_accvgpr_read_b32 v15, a47                                // 0000000054D4: D3D8400F 1800012F
	v_cvt_pk_bf16_f32 v16, v8, v9                              // 0000000054DC: D2680010 00021308
	v_cvt_pk_bf16_f32 v17, v10, v11                            // 0000000054E4: D2680011 0002170A
	v_cvt_pk_bf16_f32 v18, v12, v13                            // 0000000054EC: D2680012 00021B0C
	v_cvt_pk_bf16_f32 v19, v14, v15                            // 0000000054F4: D2680013 00021F0E
	s_nop 1                                                    // 0000000054FC: BF800001
	v_permlane16_swap_b32_e32 v16, v18                         // 000000005500: 7E20B312
	s_nop 1                                                    // 000000005504: BF800001
	v_permlane16_swap_b32_e32 v17, v19                         // 000000005508: 7E22B313
	s_nop 1                                                    // 00000000550C: BF800001
	buffer_store_dwordx4 v[16:19], v161, s[4:7], 0 offen       // 000000005510: E07C1000 800110A1
	v_add_u32_e32 v161, s62, v161                              // 000000005518: 6943423E
	v_accvgpr_read_b32 v8, a48                                 // 00000000551C: D3D84008 18000130
	v_accvgpr_read_b32 v9, a49                                 // 000000005524: D3D84009 18000131
	v_accvgpr_read_b32 v10, a50                                // 00000000552C: D3D8400A 18000132
	v_accvgpr_read_b32 v11, a51                                // 000000005534: D3D8400B 18000133
	v_accvgpr_read_b32 v12, a56                                // 00000000553C: D3D8400C 18000138
	v_accvgpr_read_b32 v13, a57                                // 000000005544: D3D8400D 18000139
	v_accvgpr_read_b32 v14, a58                                // 00000000554C: D3D8400E 1800013A
	v_accvgpr_read_b32 v15, a59                                // 000000005554: D3D8400F 1800013B
	v_cvt_pk_bf16_f32 v16, v8, v9                              // 00000000555C: D2680010 00021308
	v_cvt_pk_bf16_f32 v17, v10, v11                            // 000000005564: D2680011 0002170A
	v_cvt_pk_bf16_f32 v18, v12, v13                            // 00000000556C: D2680012 00021B0C
	v_cvt_pk_bf16_f32 v19, v14, v15                            // 000000005574: D2680013 00021F0E
	s_nop 1                                                    // 00000000557C: BF800001
	v_permlane16_swap_b32_e32 v16, v18                         // 000000005580: 7E20B312
	s_nop 1                                                    // 000000005584: BF800001
	v_permlane16_swap_b32_e32 v17, v19                         // 000000005588: 7E22B313
	s_nop 1                                                    // 00000000558C: BF800001
	buffer_store_dwordx4 v[16:19], v161, s[4:7], 0 offen       // 000000005590: E07C1000 800110A1
	v_add_u32_e32 v161, s62, v161                              // 000000005598: 6943423E
	v_accvgpr_read_b32 v8, a52                                 // 00000000559C: D3D84008 18000134
	v_accvgpr_read_b32 v9, a53                                 // 0000000055A4: D3D84009 18000135
	v_accvgpr_read_b32 v10, a54                                // 0000000055AC: D3D8400A 18000136
	v_accvgpr_read_b32 v11, a55                                // 0000000055B4: D3D8400B 18000137
	v_accvgpr_read_b32 v12, a60                                // 0000000055BC: D3D8400C 1800013C
	v_accvgpr_read_b32 v13, a61                                // 0000000055C4: D3D8400D 1800013D
	v_accvgpr_read_b32 v14, a62                                // 0000000055CC: D3D8400E 1800013E
	v_accvgpr_read_b32 v15, a63                                // 0000000055D4: D3D8400F 1800013F
	v_cvt_pk_bf16_f32 v16, v8, v9                              // 0000000055DC: D2680010 00021308
	v_cvt_pk_bf16_f32 v17, v10, v11                            // 0000000055E4: D2680011 0002170A
	v_cvt_pk_bf16_f32 v18, v12, v13                            // 0000000055EC: D2680012 00021B0C
	v_cvt_pk_bf16_f32 v19, v14, v15                            // 0000000055F4: D2680013 00021F0E
	s_nop 1                                                    // 0000000055FC: BF800001
	v_permlane16_swap_b32_e32 v16, v18                         // 000000005600: 7E20B312
	s_nop 1                                                    // 000000005604: BF800001
	v_permlane16_swap_b32_e32 v17, v19                         // 000000005608: 7E22B313
	s_nop 1                                                    // 00000000560C: BF800001
	buffer_store_dwordx4 v[16:19], v161, s[4:7], 0 offen       // 000000005610: E07C1000 800110A1
	v_add_u32_e32 v161, s62, v161                              // 000000005618: 6943423E
	s_branch label_0B8D                                        // 00000000561C: BF820105

0000000000005620 <label_0A88>:
	s_mul_i32 s62, s36, 16                                     // 000000005620: 923E9024
	s_cmp_lt_i32 s60, s44                                      // 000000005624: BF042C3C
	s_cbranch_scc0 label_0B8D                                  // 000000005628: BF840102
	s_addk_i32 s60, 0x20                                       // 00000000562C: B73C0020
	v_add_u32_e32 v161, 0, v157                                // 000000005630: 69433A80
	v_accvgpr_read_b32 v8, a0                                  // 000000005634: D3D84008 18000100
	v_accvgpr_read_b32 v9, a1                                  // 00000000563C: D3D84009 18000101
	v_accvgpr_read_b32 v10, a2                                 // 000000005644: D3D8400A 18000102
	v_accvgpr_read_b32 v11, a3                                 // 00000000564C: D3D8400B 18000103
	v_accvgpr_read_b32 v12, a8                                 // 000000005654: D3D8400C 18000108
	v_accvgpr_read_b32 v13, a9                                 // 00000000565C: D3D8400D 18000109
	v_accvgpr_read_b32 v14, a10                                // 000000005664: D3D8400E 1800010A
	v_accvgpr_read_b32 v15, a11                                // 00000000566C: D3D8400F 1800010B
	v_cvt_pk_bf16_f32 v16, v8, v9                              // 000000005674: D2680010 00021308
	v_cvt_pk_bf16_f32 v17, v10, v11                            // 00000000567C: D2680011 0002170A
	v_cvt_pk_bf16_f32 v18, v12, v13                            // 000000005684: D2680012 00021B0C
	v_cvt_pk_bf16_f32 v19, v14, v15                            // 00000000568C: D2680013 00021F0E
	s_nop 1                                                    // 000000005694: BF800001
	v_permlane16_swap_b32_e32 v16, v18                         // 000000005698: 7E20B312
	s_nop 1                                                    // 00000000569C: BF800001
	v_permlane16_swap_b32_e32 v17, v19                         // 0000000056A0: 7E22B313
	s_nop 1                                                    // 0000000056A4: BF800001
	buffer_store_dwordx4 v[16:19], v161, s[4:7], 0 offen       // 0000000056A8: E07C1000 800110A1
	v_add_u32_e32 v161, s62, v161                              // 0000000056B0: 6943423E
	v_accvgpr_read_b32 v8, a4                                  // 0000000056B4: D3D84008 18000104
	v_accvgpr_read_b32 v9, a5                                  // 0000000056BC: D3D84009 18000105
	v_accvgpr_read_b32 v10, a6                                 // 0000000056C4: D3D8400A 18000106
	v_accvgpr_read_b32 v11, a7                                 // 0000000056CC: D3D8400B 18000107
	v_accvgpr_read_b32 v12, a12                                // 0000000056D4: D3D8400C 1800010C
	v_accvgpr_read_b32 v13, a13                                // 0000000056DC: D3D8400D 1800010D
	v_accvgpr_read_b32 v14, a14                                // 0000000056E4: D3D8400E 1800010E
	v_accvgpr_read_b32 v15, a15                                // 0000000056EC: D3D8400F 1800010F
	v_cvt_pk_bf16_f32 v16, v8, v9                              // 0000000056F4: D2680010 00021308
	v_cvt_pk_bf16_f32 v17, v10, v11                            // 0000000056FC: D2680011 0002170A
	v_cvt_pk_bf16_f32 v18, v12, v13                            // 000000005704: D2680012 00021B0C
	v_cvt_pk_bf16_f32 v19, v14, v15                            // 00000000570C: D2680013 00021F0E
	s_nop 1                                                    // 000000005714: BF800001
	v_permlane16_swap_b32_e32 v16, v18                         // 000000005718: 7E20B312
	s_nop 1                                                    // 00000000571C: BF800001
	v_permlane16_swap_b32_e32 v17, v19                         // 000000005720: 7E22B313
	s_nop 1                                                    // 000000005724: BF800001
	buffer_store_dwordx4 v[16:19], v161, s[4:7], 0 offen       // 000000005728: E07C1000 800110A1
	v_add_u32_e32 v161, s62, v161                              // 000000005730: 6943423E
	v_accvgpr_read_b32 v8, a16                                 // 000000005734: D3D84008 18000110
	v_accvgpr_read_b32 v9, a17                                 // 00000000573C: D3D84009 18000111
	v_accvgpr_read_b32 v10, a18                                // 000000005744: D3D8400A 18000112
	v_accvgpr_read_b32 v11, a19                                // 00000000574C: D3D8400B 18000113
	v_accvgpr_read_b32 v12, a24                                // 000000005754: D3D8400C 18000118
	v_accvgpr_read_b32 v13, a25                                // 00000000575C: D3D8400D 18000119
	v_accvgpr_read_b32 v14, a26                                // 000000005764: D3D8400E 1800011A
	v_accvgpr_read_b32 v15, a27                                // 00000000576C: D3D8400F 1800011B
	v_cvt_pk_bf16_f32 v16, v8, v9                              // 000000005774: D2680010 00021308
	v_cvt_pk_bf16_f32 v17, v10, v11                            // 00000000577C: D2680011 0002170A
	v_cvt_pk_bf16_f32 v18, v12, v13                            // 000000005784: D2680012 00021B0C
	v_cvt_pk_bf16_f32 v19, v14, v15                            // 00000000578C: D2680013 00021F0E
	s_nop 1                                                    // 000000005794: BF800001
	v_permlane16_swap_b32_e32 v16, v18                         // 000000005798: 7E20B312
	s_nop 1                                                    // 00000000579C: BF800001
	v_permlane16_swap_b32_e32 v17, v19                         // 0000000057A0: 7E22B313
	s_nop 1                                                    // 0000000057A4: BF800001
	buffer_store_dwordx4 v[16:19], v161, s[4:7], 0 offen       // 0000000057A8: E07C1000 800110A1
	v_add_u32_e32 v161, s62, v161                              // 0000000057B0: 6943423E
	v_accvgpr_read_b32 v8, a20                                 // 0000000057B4: D3D84008 18000114
	v_accvgpr_read_b32 v9, a21                                 // 0000000057BC: D3D84009 18000115
	v_accvgpr_read_b32 v10, a22                                // 0000000057C4: D3D8400A 18000116
	v_accvgpr_read_b32 v11, a23                                // 0000000057CC: D3D8400B 18000117
	v_accvgpr_read_b32 v12, a28                                // 0000000057D4: D3D8400C 1800011C
	v_accvgpr_read_b32 v13, a29                                // 0000000057DC: D3D8400D 1800011D
	v_accvgpr_read_b32 v14, a30                                // 0000000057E4: D3D8400E 1800011E
	v_accvgpr_read_b32 v15, a31                                // 0000000057EC: D3D8400F 1800011F
	v_cvt_pk_bf16_f32 v16, v8, v9                              // 0000000057F4: D2680010 00021308
	v_cvt_pk_bf16_f32 v17, v10, v11                            // 0000000057FC: D2680011 0002170A
	v_cvt_pk_bf16_f32 v18, v12, v13                            // 000000005804: D2680012 00021B0C
	v_cvt_pk_bf16_f32 v19, v14, v15                            // 00000000580C: D2680013 00021F0E
	s_nop 1                                                    // 000000005814: BF800001
	v_permlane16_swap_b32_e32 v16, v18                         // 000000005818: 7E20B312
	s_nop 1                                                    // 00000000581C: BF800001
	v_permlane16_swap_b32_e32 v17, v19                         // 000000005820: 7E22B313
	s_nop 1                                                    // 000000005824: BF800001
	buffer_store_dwordx4 v[16:19], v161, s[4:7], 0 offen       // 000000005828: E07C1000 800110A1
	v_add_u32_e32 v161, s62, v161                              // 000000005830: 6943423E
	v_accvgpr_read_b32 v8, a32                                 // 000000005834: D3D84008 18000120
	v_accvgpr_read_b32 v9, a33                                 // 00000000583C: D3D84009 18000121
	v_accvgpr_read_b32 v10, a34                                // 000000005844: D3D8400A 18000122
	v_accvgpr_read_b32 v11, a35                                // 00000000584C: D3D8400B 18000123
	v_accvgpr_read_b32 v12, a40                                // 000000005854: D3D8400C 18000128
	v_accvgpr_read_b32 v13, a41                                // 00000000585C: D3D8400D 18000129
	v_accvgpr_read_b32 v14, a42                                // 000000005864: D3D8400E 1800012A
	v_accvgpr_read_b32 v15, a43                                // 00000000586C: D3D8400F 1800012B
	v_cvt_pk_bf16_f32 v16, v8, v9                              // 000000005874: D2680010 00021308
	v_cvt_pk_bf16_f32 v17, v10, v11                            // 00000000587C: D2680011 0002170A
	v_cvt_pk_bf16_f32 v18, v12, v13                            // 000000005884: D2680012 00021B0C
	v_cvt_pk_bf16_f32 v19, v14, v15                            // 00000000588C: D2680013 00021F0E
	s_nop 1                                                    // 000000005894: BF800001
	v_permlane16_swap_b32_e32 v16, v18                         // 000000005898: 7E20B312
	s_nop 1                                                    // 00000000589C: BF800001
	v_permlane16_swap_b32_e32 v17, v19                         // 0000000058A0: 7E22B313
	s_nop 1                                                    // 0000000058A4: BF800001
	buffer_store_dwordx4 v[16:19], v161, s[4:7], 0 offen       // 0000000058A8: E07C1000 800110A1
	v_add_u32_e32 v161, s62, v161                              // 0000000058B0: 6943423E
	v_accvgpr_read_b32 v8, a36                                 // 0000000058B4: D3D84008 18000124
	v_accvgpr_read_b32 v9, a37                                 // 0000000058BC: D3D84009 18000125
	v_accvgpr_read_b32 v10, a38                                // 0000000058C4: D3D8400A 18000126
	v_accvgpr_read_b32 v11, a39                                // 0000000058CC: D3D8400B 18000127
	v_accvgpr_read_b32 v12, a44                                // 0000000058D4: D3D8400C 1800012C
	v_accvgpr_read_b32 v13, a45                                // 0000000058DC: D3D8400D 1800012D
	v_accvgpr_read_b32 v14, a46                                // 0000000058E4: D3D8400E 1800012E
	v_accvgpr_read_b32 v15, a47                                // 0000000058EC: D3D8400F 1800012F
	v_cvt_pk_bf16_f32 v16, v8, v9                              // 0000000058F4: D2680010 00021308
	v_cvt_pk_bf16_f32 v17, v10, v11                            // 0000000058FC: D2680011 0002170A
	v_cvt_pk_bf16_f32 v18, v12, v13                            // 000000005904: D2680012 00021B0C
	v_cvt_pk_bf16_f32 v19, v14, v15                            // 00000000590C: D2680013 00021F0E
	s_nop 1                                                    // 000000005914: BF800001
	v_permlane16_swap_b32_e32 v16, v18                         // 000000005918: 7E20B312
	s_nop 1                                                    // 00000000591C: BF800001
	v_permlane16_swap_b32_e32 v17, v19                         // 000000005920: 7E22B313
	s_nop 1                                                    // 000000005924: BF800001
	buffer_store_dwordx4 v[16:19], v161, s[4:7], 0 offen       // 000000005928: E07C1000 800110A1
	v_add_u32_e32 v161, s62, v161                              // 000000005930: 6943423E
	v_accvgpr_read_b32 v8, a48                                 // 000000005934: D3D84008 18000130
	v_accvgpr_read_b32 v9, a49                                 // 00000000593C: D3D84009 18000131
	v_accvgpr_read_b32 v10, a50                                // 000000005944: D3D8400A 18000132
	v_accvgpr_read_b32 v11, a51                                // 00000000594C: D3D8400B 18000133
	v_accvgpr_read_b32 v12, a56                                // 000000005954: D3D8400C 18000138
	v_accvgpr_read_b32 v13, a57                                // 00000000595C: D3D8400D 18000139
	v_accvgpr_read_b32 v14, a58                                // 000000005964: D3D8400E 1800013A
	v_accvgpr_read_b32 v15, a59                                // 00000000596C: D3D8400F 1800013B
	v_cvt_pk_bf16_f32 v16, v8, v9                              // 000000005974: D2680010 00021308
	v_cvt_pk_bf16_f32 v17, v10, v11                            // 00000000597C: D2680011 0002170A
	v_cvt_pk_bf16_f32 v18, v12, v13                            // 000000005984: D2680012 00021B0C
	v_cvt_pk_bf16_f32 v19, v14, v15                            // 00000000598C: D2680013 00021F0E
	s_nop 1                                                    // 000000005994: BF800001
	v_permlane16_swap_b32_e32 v16, v18                         // 000000005998: 7E20B312
	s_nop 1                                                    // 00000000599C: BF800001
	v_permlane16_swap_b32_e32 v17, v19                         // 0000000059A0: 7E22B313
	s_nop 1                                                    // 0000000059A4: BF800001
	buffer_store_dwordx4 v[16:19], v161, s[4:7], 0 offen       // 0000000059A8: E07C1000 800110A1
	v_add_u32_e32 v161, s62, v161                              // 0000000059B0: 6943423E
	v_accvgpr_read_b32 v8, a52                                 // 0000000059B4: D3D84008 18000134
	v_accvgpr_read_b32 v9, a53                                 // 0000000059BC: D3D84009 18000135
	v_accvgpr_read_b32 v10, a54                                // 0000000059C4: D3D8400A 18000136
	v_accvgpr_read_b32 v11, a55                                // 0000000059CC: D3D8400B 18000137
	v_accvgpr_read_b32 v12, a60                                // 0000000059D4: D3D8400C 1800013C
	v_accvgpr_read_b32 v13, a61                                // 0000000059DC: D3D8400D 1800013D
	v_accvgpr_read_b32 v14, a62                                // 0000000059E4: D3D8400E 1800013E
	v_accvgpr_read_b32 v15, a63                                // 0000000059EC: D3D8400F 1800013F
	v_cvt_pk_bf16_f32 v16, v8, v9                              // 0000000059F4: D2680010 00021308
	v_cvt_pk_bf16_f32 v17, v10, v11                            // 0000000059FC: D2680011 0002170A
	v_cvt_pk_bf16_f32 v18, v12, v13                            // 000000005A04: D2680012 00021B0C
	v_cvt_pk_bf16_f32 v19, v14, v15                            // 000000005A0C: D2680013 00021F0E
	s_nop 1                                                    // 000000005A14: BF800001
	v_permlane16_swap_b32_e32 v16, v18                         // 000000005A18: 7E20B312
	s_nop 1                                                    // 000000005A1C: BF800001
	v_permlane16_swap_b32_e32 v17, v19                         // 000000005A20: 7E22B313
	s_nop 1                                                    // 000000005A24: BF800001
	buffer_store_dwordx4 v[16:19], v161, s[4:7], 0 offen       // 000000005A28: E07C1000 800110A1
	v_add_u32_e32 v161, s62, v161                              // 000000005A30: 6943423E

0000000000005a34 <label_0B8D>:
	s_waitcnt vmcnt(0) expcnt(0) lgkmcnt(0)                    // 000000005A34: BF8C0000
	s_endpgm                                                   // 000000005A38: BF810000
